;; amdgpu-corpus repo=ROCm/rocFFT kind=compiled arch=gfx1030 opt=O3
	.text
	.amdgcn_target "amdgcn-amd-amdhsa--gfx1030"
	.amdhsa_code_object_version 6
	.protected	fft_rtc_back_len3240_factors_3_3_10_6_6_wgs_108_tpt_108_halfLds_half_ip_CI_unitstride_sbrr_R2C_dirReg ; -- Begin function fft_rtc_back_len3240_factors_3_3_10_6_6_wgs_108_tpt_108_halfLds_half_ip_CI_unitstride_sbrr_R2C_dirReg
	.globl	fft_rtc_back_len3240_factors_3_3_10_6_6_wgs_108_tpt_108_halfLds_half_ip_CI_unitstride_sbrr_R2C_dirReg
	.p2align	8
	.type	fft_rtc_back_len3240_factors_3_3_10_6_6_wgs_108_tpt_108_halfLds_half_ip_CI_unitstride_sbrr_R2C_dirReg,@function
fft_rtc_back_len3240_factors_3_3_10_6_6_wgs_108_tpt_108_halfLds_half_ip_CI_unitstride_sbrr_R2C_dirReg: ; @fft_rtc_back_len3240_factors_3_3_10_6_6_wgs_108_tpt_108_halfLds_half_ip_CI_unitstride_sbrr_R2C_dirReg
; %bb.0:
	s_clause 0x2
	s_load_dwordx4 s[8:11], s[4:5], 0x0
	s_load_dwordx2 s[2:3], s[4:5], 0x50
	s_load_dwordx2 s[12:13], s[4:5], 0x18
	v_mul_u32_u24_e32 v1, 0x25f, v0
	v_mov_b32_e32 v3, 0
	v_add_nc_u32_sdwa v5, s6, v1 dst_sel:DWORD dst_unused:UNUSED_PAD src0_sel:DWORD src1_sel:WORD_1
	v_mov_b32_e32 v1, 0
	v_mov_b32_e32 v6, v3
	v_mov_b32_e32 v2, 0
	s_waitcnt lgkmcnt(0)
	v_cmp_lt_u64_e64 s0, s[10:11], 2
	s_and_b32 vcc_lo, exec_lo, s0
	s_cbranch_vccnz .LBB0_8
; %bb.1:
	s_load_dwordx2 s[0:1], s[4:5], 0x10
	v_mov_b32_e32 v1, 0
	s_add_u32 s6, s12, 8
	v_mov_b32_e32 v2, 0
	s_addc_u32 s7, s13, 0
	s_mov_b64 s[16:17], 1
	s_waitcnt lgkmcnt(0)
	s_add_u32 s14, s0, 8
	s_addc_u32 s15, s1, 0
.LBB0_2:                                ; =>This Inner Loop Header: Depth=1
	s_load_dwordx2 s[18:19], s[14:15], 0x0
                                        ; implicit-def: $vgpr7_vgpr8
	s_mov_b32 s0, exec_lo
	s_waitcnt lgkmcnt(0)
	v_or_b32_e32 v4, s19, v6
	v_cmpx_ne_u64_e32 0, v[3:4]
	s_xor_b32 s1, exec_lo, s0
	s_cbranch_execz .LBB0_4
; %bb.3:                                ;   in Loop: Header=BB0_2 Depth=1
	v_cvt_f32_u32_e32 v4, s18
	v_cvt_f32_u32_e32 v7, s19
	s_sub_u32 s0, 0, s18
	s_subb_u32 s20, 0, s19
	v_fmac_f32_e32 v4, 0x4f800000, v7
	v_rcp_f32_e32 v4, v4
	v_mul_f32_e32 v4, 0x5f7ffffc, v4
	v_mul_f32_e32 v7, 0x2f800000, v4
	v_trunc_f32_e32 v7, v7
	v_fmac_f32_e32 v4, 0xcf800000, v7
	v_cvt_u32_f32_e32 v7, v7
	v_cvt_u32_f32_e32 v4, v4
	v_mul_lo_u32 v8, s0, v7
	v_mul_hi_u32 v9, s0, v4
	v_mul_lo_u32 v10, s20, v4
	v_add_nc_u32_e32 v8, v9, v8
	v_mul_lo_u32 v9, s0, v4
	v_add_nc_u32_e32 v8, v8, v10
	v_mul_hi_u32 v10, v4, v9
	v_mul_lo_u32 v11, v4, v8
	v_mul_hi_u32 v12, v4, v8
	v_mul_hi_u32 v13, v7, v9
	v_mul_lo_u32 v9, v7, v9
	v_mul_hi_u32 v14, v7, v8
	v_mul_lo_u32 v8, v7, v8
	v_add_co_u32 v10, vcc_lo, v10, v11
	v_add_co_ci_u32_e32 v11, vcc_lo, 0, v12, vcc_lo
	v_add_co_u32 v9, vcc_lo, v10, v9
	v_add_co_ci_u32_e32 v9, vcc_lo, v11, v13, vcc_lo
	v_add_co_ci_u32_e32 v10, vcc_lo, 0, v14, vcc_lo
	v_add_co_u32 v8, vcc_lo, v9, v8
	v_add_co_ci_u32_e32 v9, vcc_lo, 0, v10, vcc_lo
	v_add_co_u32 v4, vcc_lo, v4, v8
	v_add_co_ci_u32_e32 v7, vcc_lo, v7, v9, vcc_lo
	v_mul_hi_u32 v8, s0, v4
	v_mul_lo_u32 v10, s20, v4
	v_mul_lo_u32 v9, s0, v7
	v_add_nc_u32_e32 v8, v8, v9
	v_mul_lo_u32 v9, s0, v4
	v_add_nc_u32_e32 v8, v8, v10
	v_mul_hi_u32 v10, v4, v9
	v_mul_lo_u32 v11, v4, v8
	v_mul_hi_u32 v12, v4, v8
	v_mul_hi_u32 v13, v7, v9
	v_mul_lo_u32 v9, v7, v9
	v_mul_hi_u32 v14, v7, v8
	v_mul_lo_u32 v8, v7, v8
	v_add_co_u32 v10, vcc_lo, v10, v11
	v_add_co_ci_u32_e32 v11, vcc_lo, 0, v12, vcc_lo
	v_add_co_u32 v9, vcc_lo, v10, v9
	v_add_co_ci_u32_e32 v9, vcc_lo, v11, v13, vcc_lo
	v_add_co_ci_u32_e32 v10, vcc_lo, 0, v14, vcc_lo
	v_add_co_u32 v8, vcc_lo, v9, v8
	v_add_co_ci_u32_e32 v9, vcc_lo, 0, v10, vcc_lo
	v_add_co_u32 v4, vcc_lo, v4, v8
	v_add_co_ci_u32_e32 v11, vcc_lo, v7, v9, vcc_lo
	v_mul_hi_u32 v13, v5, v4
	v_mad_u64_u32 v[9:10], null, v6, v4, 0
	v_mad_u64_u32 v[7:8], null, v5, v11, 0
	;; [unrolled: 1-line block ×3, first 2 shown]
	v_add_co_u32 v4, vcc_lo, v13, v7
	v_add_co_ci_u32_e32 v7, vcc_lo, 0, v8, vcc_lo
	v_add_co_u32 v4, vcc_lo, v4, v9
	v_add_co_ci_u32_e32 v4, vcc_lo, v7, v10, vcc_lo
	v_add_co_ci_u32_e32 v7, vcc_lo, 0, v12, vcc_lo
	v_add_co_u32 v4, vcc_lo, v4, v11
	v_add_co_ci_u32_e32 v9, vcc_lo, 0, v7, vcc_lo
	v_mul_lo_u32 v10, s19, v4
	v_mad_u64_u32 v[7:8], null, s18, v4, 0
	v_mul_lo_u32 v11, s18, v9
	v_sub_co_u32 v7, vcc_lo, v5, v7
	v_add3_u32 v8, v8, v11, v10
	v_sub_nc_u32_e32 v10, v6, v8
	v_subrev_co_ci_u32_e64 v10, s0, s19, v10, vcc_lo
	v_add_co_u32 v11, s0, v4, 2
	v_add_co_ci_u32_e64 v12, s0, 0, v9, s0
	v_sub_co_u32 v13, s0, v7, s18
	v_sub_co_ci_u32_e32 v8, vcc_lo, v6, v8, vcc_lo
	v_subrev_co_ci_u32_e64 v10, s0, 0, v10, s0
	v_cmp_le_u32_e32 vcc_lo, s18, v13
	v_cmp_eq_u32_e64 s0, s19, v8
	v_cndmask_b32_e64 v13, 0, -1, vcc_lo
	v_cmp_le_u32_e32 vcc_lo, s19, v10
	v_cndmask_b32_e64 v14, 0, -1, vcc_lo
	v_cmp_le_u32_e32 vcc_lo, s18, v7
	;; [unrolled: 2-line block ×3, first 2 shown]
	v_cndmask_b32_e64 v15, 0, -1, vcc_lo
	v_cmp_eq_u32_e32 vcc_lo, s19, v10
	v_cndmask_b32_e64 v7, v15, v7, s0
	v_cndmask_b32_e32 v10, v14, v13, vcc_lo
	v_add_co_u32 v13, vcc_lo, v4, 1
	v_add_co_ci_u32_e32 v14, vcc_lo, 0, v9, vcc_lo
	v_cmp_ne_u32_e32 vcc_lo, 0, v10
	v_cndmask_b32_e32 v8, v14, v12, vcc_lo
	v_cndmask_b32_e32 v10, v13, v11, vcc_lo
	v_cmp_ne_u32_e32 vcc_lo, 0, v7
	v_cndmask_b32_e32 v8, v9, v8, vcc_lo
	v_cndmask_b32_e32 v7, v4, v10, vcc_lo
.LBB0_4:                                ;   in Loop: Header=BB0_2 Depth=1
	s_andn2_saveexec_b32 s0, s1
	s_cbranch_execz .LBB0_6
; %bb.5:                                ;   in Loop: Header=BB0_2 Depth=1
	v_cvt_f32_u32_e32 v4, s18
	s_sub_i32 s1, 0, s18
	v_rcp_iflag_f32_e32 v4, v4
	v_mul_f32_e32 v4, 0x4f7ffffe, v4
	v_cvt_u32_f32_e32 v4, v4
	v_mul_lo_u32 v7, s1, v4
	v_mul_hi_u32 v7, v4, v7
	v_add_nc_u32_e32 v4, v4, v7
	v_mul_hi_u32 v4, v5, v4
	v_mul_lo_u32 v7, v4, s18
	v_add_nc_u32_e32 v8, 1, v4
	v_sub_nc_u32_e32 v7, v5, v7
	v_subrev_nc_u32_e32 v9, s18, v7
	v_cmp_le_u32_e32 vcc_lo, s18, v7
	v_cndmask_b32_e32 v7, v7, v9, vcc_lo
	v_cndmask_b32_e32 v4, v4, v8, vcc_lo
	v_cmp_le_u32_e32 vcc_lo, s18, v7
	v_add_nc_u32_e32 v8, 1, v4
	v_cndmask_b32_e32 v7, v4, v8, vcc_lo
	v_mov_b32_e32 v8, v3
.LBB0_6:                                ;   in Loop: Header=BB0_2 Depth=1
	s_or_b32 exec_lo, exec_lo, s0
	s_load_dwordx2 s[0:1], s[6:7], 0x0
	v_mul_lo_u32 v4, v8, s18
	v_mul_lo_u32 v11, v7, s19
	v_mad_u64_u32 v[9:10], null, v7, s18, 0
	s_add_u32 s16, s16, 1
	s_addc_u32 s17, s17, 0
	s_add_u32 s6, s6, 8
	s_addc_u32 s7, s7, 0
	;; [unrolled: 2-line block ×3, first 2 shown]
	v_add3_u32 v4, v10, v11, v4
	v_sub_co_u32 v5, vcc_lo, v5, v9
	v_sub_co_ci_u32_e32 v4, vcc_lo, v6, v4, vcc_lo
	s_waitcnt lgkmcnt(0)
	v_mul_lo_u32 v6, s1, v5
	v_mul_lo_u32 v4, s0, v4
	v_mad_u64_u32 v[1:2], null, s0, v5, v[1:2]
	v_cmp_ge_u64_e64 s0, s[16:17], s[10:11]
	s_and_b32 vcc_lo, exec_lo, s0
	v_add3_u32 v2, v6, v2, v4
	s_cbranch_vccnz .LBB0_9
; %bb.7:                                ;   in Loop: Header=BB0_2 Depth=1
	v_mov_b32_e32 v5, v7
	v_mov_b32_e32 v6, v8
	s_branch .LBB0_2
.LBB0_8:
	v_mov_b32_e32 v8, v6
	v_mov_b32_e32 v7, v5
.LBB0_9:
	s_lshl_b64 s[0:1], s[10:11], 3
	v_mul_hi_u32 v3, 0x25ed098, v0
	s_add_u32 s0, s12, s0
	s_addc_u32 s1, s13, s1
	s_load_dwordx2 s[4:5], s[4:5], 0x20
	s_load_dwordx2 s[0:1], s[0:1], 0x0
	v_mul_u32_u24_e32 v3, 0x6c, v3
	v_sub_nc_u32_e32 v24, v0, v3
	v_add_nc_u32_e32 v26, 0x6c, v24
	v_add_nc_u32_e32 v38, 0xd8, v24
	;; [unrolled: 1-line block ×5, first 2 shown]
	s_waitcnt lgkmcnt(0)
	v_cmp_gt_u64_e32 vcc_lo, s[4:5], v[7:8]
	v_mul_lo_u32 v3, s0, v8
	v_mul_lo_u32 v4, s1, v7
	v_mad_u64_u32 v[0:1], null, s0, v7, v[1:2]
	v_cmp_le_u64_e64 s0, s[4:5], v[7:8]
	v_add_nc_u32_e32 v34, 0x288, v24
	v_add_nc_u32_e32 v31, 0x2f4, v24
	;; [unrolled: 1-line block ×4, first 2 shown]
	v_add3_u32 v1, v4, v1, v3
	s_and_saveexec_b32 s1, s0
	s_xor_b32 s0, exec_lo, s1
; %bb.10:
	v_add_nc_u32_e32 v26, 0x6c, v24
	v_add_nc_u32_e32 v38, 0xd8, v24
	;; [unrolled: 1-line block ×9, first 2 shown]
; %bb.11:
	s_or_saveexec_b32 s1, s0
	v_lshlrev_b64 v[28:29], 2, v[0:1]
	s_xor_b32 exec_lo, exec_lo, s1
	s_cbranch_execz .LBB0_13
; %bb.12:
	v_mov_b32_e32 v25, 0
	v_add_co_u32 v2, s0, s2, v28
	v_add_co_ci_u32_e64 v3, s0, s3, v29, s0
	v_lshlrev_b64 v[0:1], 2, v[24:25]
	v_add_co_u32 v0, s0, v2, v0
	v_add_co_ci_u32_e64 v1, s0, v3, v1, s0
	v_add_co_u32 v2, s0, 0x800, v0
	v_add_co_ci_u32_e64 v3, s0, 0, v1, s0
	;; [unrolled: 2-line block ×5, first 2 shown]
	s_clause 0x17
	global_load_dword v10, v[0:1], off
	global_load_dword v11, v[0:1], off offset:432
	global_load_dword v12, v[0:1], off offset:864
	;; [unrolled: 1-line block ×23, first 2 shown]
	v_add_co_u32 v2, s0, 0x2800, v0
	v_add_co_ci_u32_e64 v3, s0, 0, v1, s0
	v_add_co_u32 v0, s0, 0x3000, v0
	v_add_co_ci_u32_e64 v1, s0, 0, v1, s0
	s_clause 0x5
	global_load_dword v9, v[2:3], off offset:128
	global_load_dword v41, v[2:3], off offset:560
	;; [unrolled: 1-line block ×6, first 2 shown]
	v_lshl_add_u32 v1, v24, 2, 0
	v_add_nc_u32_e32 v3, 0x200, v1
	v_add_nc_u32_e32 v44, 0x600, v1
	;; [unrolled: 1-line block ×14, first 2 shown]
	s_waitcnt vmcnt(28)
	ds_write2_b32 v1, v10, v11 offset1:108
	s_waitcnt vmcnt(26)
	ds_write2_b32 v3, v12, v13 offset0:88 offset1:196
	s_waitcnt vmcnt(24)
	ds_write2_b32 v44, v14, v15 offset0:48 offset1:156
	;; [unrolled: 2-line block ×14, first 2 shown]
.LBB0_13:
	s_or_b32 exec_lo, exec_lo, s1
	v_lshlrev_b32_e32 v25, 2, v24
	s_waitcnt lgkmcnt(0)
	s_barrier
	buffer_gl0_inv
	v_mad_u32_u24 v51, v24, 12, 0
	v_add_nc_u32_e32 v59, 0, v25
	v_mad_i32_i24 v67, v38, 12, 0
	v_mad_i32_i24 v66, v37, 12, 0
	;; [unrolled: 1-line block ×4, first 2 shown]
	v_add_nc_u32_e32 v75, 0x800, v59
	v_add_nc_u32_e32 v72, 0x1a00, v59
	;; [unrolled: 1-line block ×7, first 2 shown]
	ds_read2_b32 v[0:1], v75 offset0:136 offset1:244
	ds_read2_b32 v[2:3], v72 offset0:64 offset1:172
	;; [unrolled: 1-line block ×6, first 2 shown]
	v_add_nc_u32_e32 v70, 0x2a00, v59
	v_add_nc_u32_e32 v71, 0x2800, v59
	;; [unrolled: 1-line block ×4, first 2 shown]
	ds_read2_b32 v[12:13], v73 offset0:72 offset1:180
	ds_read2_b32 v[14:15], v70 offset0:120 offset1:228
	;; [unrolled: 1-line block ×3, first 2 shown]
	ds_read2_b32 v[18:19], v59 offset1:108
	ds_read2_b32 v[20:21], v78 offset0:56 offset1:164
	ds_read2_b32 v[22:23], v81 offset0:112 offset1:220
	v_add_nc_u32_e32 v80, 0xc00, v59
	v_add_nc_u32_e32 v79, 0x1e00, v59
	;; [unrolled: 1-line block ×3, first 2 shown]
	v_mad_i32_i24 v63, v34, 12, 0
	v_mad_i32_i24 v62, v31, 12, 0
	v_and_b32_e32 v92, 0xff, v26
	v_mad_i32_i24 v61, v33, 12, 0
	v_mad_i32_i24 v60, v30, 12, 0
	s_waitcnt lgkmcnt(10)
	v_pk_add_f16 v32, v0, v2
	v_pk_add_f16 v27, v1, v3
	s_waitcnt lgkmcnt(8)
	v_pk_add_f16 v40, v5, v7
	v_pk_add_f16 v41, v4, v6
	;; [unrolled: 3-line block ×3, first 2 shown]
	v_mov_b32_e32 v58, 36
	v_mov_b32_e32 v91, 2
	v_lshlrev_b32_e32 v82, 3, v33
	s_waitcnt lgkmcnt(5)
	v_pk_add_f16 v44, v10, v12
	v_pk_add_f16 v45, v10, v12 neg_lo:[0,1] neg_hi:[0,1]
	v_pk_add_f16 v46, v11, v13
	v_pk_add_f16 v47, v11, v13 neg_lo:[0,1] neg_hi:[0,1]
	s_waitcnt lgkmcnt(4)
	v_pk_add_f16 v32, v32, v14
	s_waitcnt lgkmcnt(3)
	v_pk_add_f16 v40, v40, v17
	v_pk_add_f16 v41, v41, v16
	;; [unrolled: 1-line block ×5, first 2 shown]
	v_pk_add_f16 v16, v6, v16 neg_lo:[0,1] neg_hi:[0,1]
	v_pk_add_f16 v43, v7, v17
	v_pk_add_f16 v17, v7, v17 neg_lo:[0,1] neg_hi:[0,1]
	v_pk_add_f16 v48, v2, v14
	v_pk_add_f16 v14, v2, v14 neg_lo:[0,1] neg_hi:[0,1]
	s_waitcnt lgkmcnt(1)
	v_pk_add_f16 v2, v19, v21
	s_waitcnt lgkmcnt(0)
	v_pk_add_f16 v6, v20, v22
	v_pk_add_f16 v7, v20, v22 neg_lo:[0,1] neg_hi:[0,1]
	v_pk_add_f16 v27, v27, v15
	v_pk_add_f16 v49, v3, v15
	v_pk_add_f16 v15, v3, v15 neg_lo:[0,1] neg_hi:[0,1]
	v_pk_add_f16 v3, v18, v20
	;; [unrolled: 3-line block ×3, first 2 shown]
	v_pk_fma_f16 v2, v6, 0.5, v18 op_sel_hi:[1,0,1] neg_lo:[1,0,0] neg_hi:[1,0,0]
	v_pk_mul_f16 v6, 0x3aee, v7 op_sel_hi:[0,1]
	v_pk_add_f16 v18, v3, v22
	v_pk_fma_f16 v19, v20, 0.5, v19 op_sel_hi:[1,0,1] neg_lo:[1,0,0] neg_hi:[1,0,0]
	v_pk_mul_f16 v20, 0x3aee, v21 op_sel_hi:[0,1]
	v_pk_fma_f16 v8, v44, 0.5, v8 op_sel_hi:[1,0,1] neg_lo:[1,0,0] neg_hi:[1,0,0]
	v_pk_add_f16 v22, v2, v6 op_sel:[0,1] op_sel_hi:[1,0] neg_lo:[0,1] neg_hi:[0,1]
	v_pk_add_f16 v50, v2, v6 op_sel:[0,1] op_sel_hi:[1,0]
	ds_read2_b32 v[2:3], v80 offset0:96 offset1:204
	ds_read2_b32 v[6:7], v79 offset0:24 offset1:132
	;; [unrolled: 1-line block ×3, first 2 shown]
	s_waitcnt lgkmcnt(0)
	s_barrier
	buffer_gl0_inv
	v_bfi_b32 v52, 0xffff, v22, v50
	v_pk_add_f16 v21, v19, v20 op_sel:[0,1] op_sel_hi:[1,0] neg_lo:[0,1] neg_hi:[0,1]
	v_pk_add_f16 v19, v19, v20 op_sel:[0,1] op_sel_hi:[1,0]
	v_pk_mul_f16 v20, 0x3aee, v45 op_sel_hi:[0,1]
	v_pk_fma_f16 v9, v46, 0.5, v9 op_sel_hi:[1,0,1] neg_lo:[1,0,0] neg_hi:[1,0,0]
	ds_write2_b32 v51, v18, v52 offset1:1
	v_bfi_b32 v18, 0xffff, v50, v22
	v_bfi_b32 v22, 0xffff, v21, v19
	v_bfi_b32 v19, 0xffff, v19, v21
	v_pk_add_f16 v21, v8, v20 op_sel:[0,1] op_sel_hi:[1,0] neg_lo:[0,1] neg_hi:[0,1]
	v_pk_add_f16 v8, v8, v20 op_sel:[0,1] op_sel_hi:[1,0]
	ds_write_b32 v51, v18 offset:8
	v_mad_i32_i24 v18, v26, 12, 0
	v_pk_mul_f16 v20, 0x3aee, v47 op_sel_hi:[0,1]
	ds_write2_b32 v18, v23, v22 offset1:1
	ds_write_b32 v18, v19 offset:8
	v_bfi_b32 v18, 0xffff, v21, v8
	v_pk_add_f16 v19, v9, v20 op_sel:[0,1] op_sel_hi:[1,0] neg_lo:[0,1] neg_hi:[0,1]
	v_pk_add_f16 v9, v9, v20 op_sel:[0,1] op_sel_hi:[1,0]
	v_pk_fma_f16 v4, v42, 0.5, v4 op_sel_hi:[1,0,1] neg_lo:[1,0,0] neg_hi:[1,0,0]
	v_pk_mul_f16 v16, 0x3aee, v16 op_sel_hi:[0,1]
	v_bfi_b32 v8, 0xffff, v8, v21
	ds_write2_b32 v67, v12, v18 offset1:1
	v_bfi_b32 v12, 0xffff, v19, v9
	v_pk_fma_f16 v5, v43, 0.5, v5 op_sel_hi:[1,0,1] neg_lo:[1,0,0] neg_hi:[1,0,0]
	v_pk_add_f16 v18, v4, v16 op_sel:[0,1] op_sel_hi:[1,0] neg_lo:[0,1] neg_hi:[0,1]
	v_pk_add_f16 v4, v4, v16 op_sel:[0,1] op_sel_hi:[1,0]
	ds_write_b32 v67, v8 offset:8
	v_bfi_b32 v8, 0xffff, v9, v19
	ds_write2_b32 v66, v13, v12 offset1:1
	v_pk_fma_f16 v0, v48, 0.5, v0 op_sel_hi:[1,0,1] neg_lo:[1,0,0] neg_hi:[1,0,0]
	v_bfi_b32 v9, 0xffff, v18, v4
	v_bfi_b32 v4, 0xffff, v4, v18
	ds_write_b32 v66, v8 offset:8
	v_pk_mul_f16 v8, 0x3aee, v17 op_sel_hi:[0,1]
	v_pk_mul_f16 v12, 0x3aee, v14 op_sel_hi:[0,1]
	ds_write2_b32 v65, v41, v9 offset1:1
	v_pk_fma_f16 v1, v49, 0.5, v1 op_sel_hi:[1,0,1] neg_lo:[1,0,0] neg_hi:[1,0,0]
	v_pk_mul_f16 v13, 0x3aee, v15 op_sel_hi:[0,1]
	v_pk_add_f16 v9, v5, v8 op_sel:[0,1] op_sel_hi:[1,0] neg_lo:[0,1] neg_hi:[0,1]
	v_pk_add_f16 v5, v5, v8 op_sel:[0,1] op_sel_hi:[1,0]
	ds_write_b32 v65, v4 offset:8
	v_and_b32_e32 v18, 0xff, v24
	v_pk_add_f16 v4, v3, v7
	v_lshlrev_b32_e32 v69, 3, v37
	v_bfi_b32 v8, 0xffff, v9, v5
	v_bfi_b32 v5, 0xffff, v5, v9
	v_lshlrev_b32_e32 v83, 3, v36
	v_pk_add_f16 v4, v4, v11
	v_lshlrev_b32_e32 v84, 3, v35
	ds_write2_b32 v64, v40, v8 offset1:1
	v_pk_add_f16 v8, v0, v12 op_sel:[0,1] op_sel_hi:[1,0] neg_lo:[0,1] neg_hi:[0,1]
	v_pk_add_f16 v0, v0, v12 op_sel:[0,1] op_sel_hi:[1,0]
	v_pk_add_f16 v12, v1, v13 op_sel:[0,1] op_sel_hi:[1,0] neg_lo:[0,1] neg_hi:[0,1]
	v_pk_add_f16 v1, v1, v13 op_sel:[0,1] op_sel_hi:[1,0]
	v_pk_add_f16 v13, v2, v6
	v_lshlrev_b32_e32 v86, 3, v34
	v_bfi_b32 v9, 0xffff, v8, v0
	v_bfi_b32 v0, 0xffff, v0, v8
	;; [unrolled: 1-line block ×3, first 2 shown]
	ds_write_b32 v64, v5 offset:8
	ds_write2_b32 v63, v32, v9 offset1:1
	ds_write_b32 v63, v0 offset:8
	ds_write2_b32 v62, v27, v8 offset1:1
	v_pk_add_f16 v0, v6, v10
	v_pk_add_f16 v5, v6, v10 neg_lo:[0,1] neg_hi:[0,1]
	v_pk_add_f16 v6, v7, v11
	v_pk_add_f16 v7, v7, v11 neg_lo:[0,1] neg_hi:[0,1]
	v_bfi_b32 v1, 0xffff, v1, v12
	v_pk_fma_f16 v0, v0, 0.5, v2 op_sel_hi:[1,0,1] neg_lo:[1,0,0] neg_hi:[1,0,0]
	v_mul_lo_u16 v2, 0xab, v18
	v_pk_mul_f16 v5, 0x3aee, v5 op_sel_hi:[0,1]
	v_pk_fma_f16 v3, v6, 0.5, v3 op_sel_hi:[1,0,1] neg_lo:[1,0,0] neg_hi:[1,0,0]
	v_pk_mul_f16 v6, 0x3aee, v7 op_sel_hi:[0,1]
	v_pk_add_f16 v13, v13, v10
	v_lshrrev_b16 v40, 9, v2
	v_pk_add_f16 v2, v0, v5 op_sel:[0,1] op_sel_hi:[1,0] neg_lo:[0,1] neg_hi:[0,1]
	v_pk_add_f16 v0, v0, v5 op_sel:[0,1] op_sel_hi:[1,0]
	v_pk_add_f16 v5, v3, v6 op_sel:[0,1] op_sel_hi:[1,0] neg_lo:[0,1] neg_hi:[0,1]
	v_pk_add_f16 v3, v3, v6 op_sel:[0,1] op_sel_hi:[1,0]
	v_mul_lo_u16 v6, v40, 3
	ds_write_b32 v62, v1 offset:8
	v_bfi_b32 v1, 0xffff, v2, v0
	v_bfi_b32 v0, 0xffff, v0, v2
	;; [unrolled: 1-line block ×3, first 2 shown]
	v_sub_nc_u16 v41, v24, v6
	v_mul_lo_u16 v6, 0xab, v92
	ds_write2_b32 v61, v13, v1 offset1:1
	ds_write_b32 v61, v0 offset:8
	v_mov_b32_e32 v13, 0xaaab
	v_mov_b32_e32 v12, 3
	v_bfi_b32 v3, 0xffff, v3, v5
	v_lshrrev_b16 v42, 9, v6
	ds_write2_b32 v60, v4, v2 offset1:1
	v_mul_u32_u24_sdwa v2, v38, v13 dst_sel:DWORD dst_unused:UNUSED_PAD src0_sel:WORD_0 src1_sel:DWORD
	v_mul_u32_u24_sdwa v5, v36, v13 dst_sel:DWORD dst_unused:UNUSED_PAD src0_sel:WORD_0 src1_sel:DWORD
	;; [unrolled: 1-line block ×3, first 2 shown]
	v_mul_lo_u16 v1, v42, 3
	v_lshlrev_b32_sdwa v0, v12, v41 dst_sel:DWORD dst_unused:UNUSED_PAD src0_sel:DWORD src1_sel:BYTE_0
	v_lshrrev_b32_e32 v23, 17, v2
	v_mul_u32_u24_sdwa v2, v37, v13 dst_sel:DWORD dst_unused:UNUSED_PAD src0_sel:WORD_0 src1_sel:DWORD
	v_lshrrev_b32_e32 v44, 17, v5
	v_sub_nc_u16 v49, v26, v1
	v_lshrrev_b32_e32 v50, 17, v7
	v_mul_u32_u24_sdwa v7, v34, v13 dst_sel:DWORD dst_unused:UNUSED_PAD src0_sel:WORD_0 src1_sel:DWORD
	ds_write_b32 v60, v3 offset:8
	s_waitcnt lgkmcnt(0)
	s_barrier
	buffer_gl0_inv
	global_load_dwordx2 v[0:1], v0, s[8:9]
	v_lshlrev_b32_sdwa v3, v12, v49 dst_sel:DWORD dst_unused:UNUSED_PAD src0_sel:DWORD src1_sel:BYTE_0
	v_mul_lo_u16 v4, v23, 3
	v_lshrrev_b32_e32 v22, 17, v2
	v_mul_lo_u16 v10, v44, 3
	v_lshrrev_b32_e32 v43, 17, v7
	global_load_dwordx2 v[2:3], v3, s[8:9]
	v_sub_nc_u16 v46, v38, v4
	v_mul_lo_u16 v4, v22, 3
	v_sub_nc_u16 v54, v36, v10
	v_mul_lo_u16 v14, v43, 3
	v_mul_u32_u24_sdwa v15, v33, v13 dst_sel:DWORD dst_unused:UNUSED_PAD src0_sel:WORD_0 src1_sel:DWORD
	v_lshlrev_b32_sdwa v6, v12, v46 dst_sel:DWORD dst_unused:UNUSED_PAD src0_sel:DWORD src1_sel:WORD_0
	v_sub_nc_u16 v53, v37, v4
	v_lshlrev_b32_sdwa v10, v12, v54 dst_sel:DWORD dst_unused:UNUSED_PAD src0_sel:DWORD src1_sel:WORD_0
	v_sub_nc_u16 v45, v34, v14
	v_lshrrev_b32_e32 v47, 17, v15
	global_load_dwordx2 v[4:5], v6, s[8:9]
	v_lshlrev_b32_e32 v27, 3, v31
	global_load_dwordx2 v[10:11], v10, s[8:9]
	v_lshlrev_b32_sdwa v6, v12, v53 dst_sel:DWORD dst_unused:UNUSED_PAD src0_sel:DWORD src1_sel:WORD_0
	v_lshlrev_b32_sdwa v16, v12, v45 dst_sel:DWORD dst_unused:UNUSED_PAD src0_sel:DWORD src1_sel:WORD_0
	v_mul_lo_u16 v15, v47, 3
	v_lshlrev_b32_e32 v32, 3, v38
	v_lshlrev_b32_e32 v85, 3, v30
	s_clause 0x1
	global_load_dwordx2 v[8:9], v6, s[8:9]
	global_load_dwordx2 v[56:57], v16, s[8:9]
	v_mul_lo_u16 v6, v50, 3
	v_sub_nc_u16 v48, v33, v15
	v_mul_u32_u24_sdwa v93, v40, v58 dst_sel:DWORD dst_unused:UNUSED_PAD src0_sel:WORD_0 src1_sel:DWORD
	v_lshlrev_b32_sdwa v94, v91, v41 dst_sel:DWORD dst_unused:UNUSED_PAD src0_sel:DWORD src1_sel:BYTE_0
	v_sub_nc_u32_e32 v55, v62, v27
	v_sub_nc_u16 v52, v35, v6
	v_mul_u32_u24_sdwa v6, v31, v13 dst_sel:DWORD dst_unused:UNUSED_PAD src0_sel:WORD_0 src1_sel:DWORD
	v_mul_u32_u24_sdwa v13, v30, v13 dst_sel:DWORD dst_unused:UNUSED_PAD src0_sel:WORD_0 src1_sel:DWORD
	v_sub_nc_u32_e32 v113, v61, v82
	v_lshl_add_u32 v68, v26, 2, 0
	v_lshlrev_b32_sdwa v7, v12, v52 dst_sel:DWORD dst_unused:UNUSED_PAD src0_sel:DWORD src1_sel:WORD_0
	v_lshrrev_b32_e32 v21, 17, v6
	v_lshrrev_b32_e32 v19, 17, v13
	v_sub_nc_u32_e32 v89, v67, v32
	v_sub_nc_u32_e32 v88, v66, v69
	global_load_dwordx2 v[6:7], v7, s[8:9]
	v_mul_lo_u16 v14, v21, 3
	v_mul_lo_u16 v13, v19, 3
	v_sub_nc_u32_e32 v87, v65, v83
	v_sub_nc_u32_e32 v90, v64, v84
	;; [unrolled: 1-line block ×3, first 2 shown]
	v_sub_nc_u16 v51, v31, v14
	v_sub_nc_u16 v20, v30, v13
	v_sub_nc_u32_e32 v41, v60, v85
	v_add3_u32 v114, 0, v93, v94
	v_mul_u32_u24_e32 v23, 36, v23
	v_lshlrev_b32_sdwa v14, v12, v51 dst_sel:DWORD dst_unused:UNUSED_PAD src0_sel:DWORD src1_sel:WORD_0
	v_lshlrev_b32_sdwa v46, v91, v46 dst_sel:DWORD dst_unused:UNUSED_PAD src0_sel:DWORD src1_sel:WORD_0
	v_cmp_gt_u32_e64 s0, 0x5a, v24
	s_add_u32 s1, s8, 0x3294
	s_addc_u32 s4, s9, 0
	global_load_dwordx2 v[16:17], v14, s[8:9]
	v_lshlrev_b32_sdwa v14, v12, v48 dst_sel:DWORD dst_unused:UNUSED_PAD src0_sel:DWORD src1_sel:WORD_0
	v_lshlrev_b32_sdwa v12, v12, v20 dst_sel:DWORD dst_unused:UNUSED_PAD src0_sel:DWORD src1_sel:WORD_0
	v_add3_u32 v23, 0, v23, v46
	s_mov_b32 s5, exec_lo
	s_clause 0x1
	global_load_dwordx2 v[14:15], v14, s[8:9]
	global_load_dwordx2 v[12:13], v12, s[8:9]
	ds_read2_b32 v[93:94], v78 offset0:56 offset1:164
	ds_read2_b32 v[95:96], v81 offset0:112 offset1:220
	;; [unrolled: 1-line block ×10, first 2 shown]
	ds_read_b32 v115, v59
	ds_read_b32 v116, v68
	;; [unrolled: 1-line block ×10, first 2 shown]
	s_waitcnt lgkmcnt(19)
	v_lshrrev_b32_e32 v123, 16, v93
	s_waitcnt lgkmcnt(18)
	v_lshrrev_b32_e32 v124, 16, v95
	v_lshrrev_b32_e32 v125, 16, v94
	;; [unrolled: 1-line block ×3, first 2 shown]
	s_waitcnt lgkmcnt(17)
	v_lshrrev_b32_e32 v128, 16, v97
	s_waitcnt vmcnt(0) lgkmcnt(0)
	s_barrier
	buffer_gl0_inv
	v_mul_f16_sdwa v129, v95, v1 dst_sel:DWORD dst_unused:UNUSED_PAD src0_sel:DWORD src1_sel:WORD_1
	v_mul_f16_sdwa v127, v0, v93 dst_sel:DWORD dst_unused:UNUSED_PAD src0_sel:WORD_1 src1_sel:DWORD
	v_mul_f16_sdwa v130, v0, v123 dst_sel:DWORD dst_unused:UNUSED_PAD src0_sel:WORD_1 src1_sel:DWORD
	v_mul_f16_sdwa v131, v124, v1 dst_sel:DWORD dst_unused:UNUSED_PAD src0_sel:DWORD src1_sel:WORD_1
	v_fma_f16 v124, v124, v1, -v129
	v_mul_f16_sdwa v129, v125, v2 dst_sel:DWORD dst_unused:UNUSED_PAD src0_sel:DWORD src1_sel:WORD_1
	v_fma_f16 v123, v0, v123, -v127
	v_fmac_f16_e32 v130, v0, v93
	v_mul_f16_sdwa v0, v126, v3 dst_sel:DWORD dst_unused:UNUSED_PAD src0_sel:DWORD src1_sel:WORD_1
	v_mul_f16_sdwa v93, v94, v2 dst_sel:DWORD dst_unused:UNUSED_PAD src0_sel:DWORD src1_sel:WORD_1
	v_fmac_f16_e32 v129, v94, v2
	v_mul_f16_sdwa v94, v96, v3 dst_sel:DWORD dst_unused:UNUSED_PAD src0_sel:DWORD src1_sel:WORD_1
	v_lshrrev_b32_e32 v127, 16, v99
	v_fmac_f16_e32 v131, v95, v1
	v_lshrrev_b32_e32 v1, 16, v98
	v_fmac_f16_e32 v0, v96, v3
	v_fma_f16 v3, v126, v3, -v94
	v_mul_f16_sdwa v94, v99, v5 dst_sel:DWORD dst_unused:UNUSED_PAD src0_sel:DWORD src1_sel:WORD_1
	v_lshrrev_b32_e32 v95, 16, v100
	v_fma_f16 v2, v125, v2, -v93
	v_mul_f16_sdwa v93, v97, v4 dst_sel:DWORD dst_unused:UNUSED_PAD src0_sel:DWORD src1_sel:WORD_1
	v_mul_f16_sdwa v125, v128, v4 dst_sel:DWORD dst_unused:UNUSED_PAD src0_sel:DWORD src1_sel:WORD_1
	;; [unrolled: 1-line block ×3, first 2 shown]
	v_fma_f16 v94, v127, v5, -v94
	v_mul_f16_sdwa v127, v1, v8 dst_sel:DWORD dst_unused:UNUSED_PAD src0_sel:DWORD src1_sel:WORD_1
	v_fma_f16 v93, v128, v4, -v93
	v_fmac_f16_e32 v125, v97, v4
	v_mul_f16_sdwa v4, v95, v9 dst_sel:DWORD dst_unused:UNUSED_PAD src0_sel:DWORD src1_sel:WORD_1
	v_mul_f16_sdwa v97, v98, v8 dst_sel:DWORD dst_unused:UNUSED_PAD src0_sel:DWORD src1_sel:WORD_1
	v_fmac_f16_e32 v127, v98, v8
	v_mul_f16_sdwa v98, v100, v9 dst_sel:DWORD dst_unused:UNUSED_PAD src0_sel:DWORD src1_sel:WORD_1
	v_lshrrev_b32_e32 v96, 16, v101
	v_lshrrev_b32_e32 v128, 16, v103
	v_fmac_f16_e32 v126, v99, v5
	v_lshrrev_b32_e32 v5, 16, v102
	v_fmac_f16_e32 v4, v100, v9
	v_fma_f16 v9, v95, v9, -v98
	v_mul_f16_sdwa v95, v103, v11 dst_sel:DWORD dst_unused:UNUSED_PAD src0_sel:DWORD src1_sel:WORD_1
	v_lshrrev_b32_e32 v99, 16, v104
	v_fma_f16 v1, v1, v8, -v97
	v_mul_f16_sdwa v8, v101, v10 dst_sel:DWORD dst_unused:UNUSED_PAD src0_sel:DWORD src1_sel:WORD_1
	v_mul_f16_sdwa v97, v96, v10 dst_sel:DWORD dst_unused:UNUSED_PAD src0_sel:DWORD src1_sel:WORD_1
	;; [unrolled: 1-line block ×3, first 2 shown]
	v_fma_f16 v95, v128, v11, -v95
	v_mul_f16_sdwa v128, v5, v6 dst_sel:DWORD dst_unused:UNUSED_PAD src0_sel:DWORD src1_sel:WORD_1
	v_fma_f16 v8, v96, v10, -v8
	v_fmac_f16_e32 v97, v101, v10
	v_mul_f16_sdwa v10, v99, v7 dst_sel:DWORD dst_unused:UNUSED_PAD src0_sel:DWORD src1_sel:WORD_1
	v_mul_f16_sdwa v101, v102, v6 dst_sel:DWORD dst_unused:UNUSED_PAD src0_sel:DWORD src1_sel:WORD_1
	v_fmac_f16_e32 v128, v102, v6
	v_mul_f16_sdwa v102, v104, v7 dst_sel:DWORD dst_unused:UNUSED_PAD src0_sel:DWORD src1_sel:WORD_1
	v_lshrrev_b32_e32 v100, 16, v105
	v_lshrrev_b32_e32 v96, 16, v107
	v_fmac_f16_e32 v98, v103, v11
	v_lshrrev_b32_e32 v11, 16, v106
	v_fmac_f16_e32 v10, v104, v7
	v_fma_f16 v7, v99, v7, -v102
	v_mul_f16_sdwa v99, v107, v57 dst_sel:DWORD dst_unused:UNUSED_PAD src0_sel:DWORD src1_sel:WORD_1
	v_lshrrev_b32_e32 v103, 16, v108
	v_fma_f16 v5, v5, v6, -v101
	v_mul_f16_sdwa v6, v105, v56 dst_sel:DWORD dst_unused:UNUSED_PAD src0_sel:DWORD src1_sel:WORD_1
	v_mul_f16_sdwa v101, v100, v56 dst_sel:DWORD dst_unused:UNUSED_PAD src0_sel:DWORD src1_sel:WORD_1
	;; [unrolled: 1-line block ×3, first 2 shown]
	v_fma_f16 v96, v96, v57, -v99
	v_mul_f16_sdwa v99, v11, v16 dst_sel:DWORD dst_unused:UNUSED_PAD src0_sel:DWORD src1_sel:WORD_1
	v_lshrrev_b32_e32 v104, 16, v109
	v_fma_f16 v6, v100, v56, -v6
	v_lshrrev_b32_e32 v100, 16, v111
	v_fmac_f16_e32 v101, v105, v56
	v_mul_f16_sdwa v56, v103, v17 dst_sel:DWORD dst_unused:UNUSED_PAD src0_sel:DWORD src1_sel:WORD_1
	v_fmac_f16_e32 v99, v106, v16
	v_mul_f16_sdwa v105, v106, v16 dst_sel:DWORD dst_unused:UNUSED_PAD src0_sel:DWORD src1_sel:WORD_1
	v_mul_f16_sdwa v106, v108, v17 dst_sel:DWORD dst_unused:UNUSED_PAD src0_sel:DWORD src1_sel:WORD_1
	v_fmac_f16_e32 v102, v107, v57
	v_lshrrev_b32_e32 v57, 16, v110
	v_fmac_f16_e32 v56, v108, v17
	v_lshrrev_b32_e32 v107, 16, v112
	v_fma_f16 v11, v11, v16, -v105
	v_mul_f16_sdwa v16, v109, v14 dst_sel:DWORD dst_unused:UNUSED_PAD src0_sel:DWORD src1_sel:WORD_1
	v_fma_f16 v17, v103, v17, -v106
	v_mul_f16_sdwa v103, v111, v15 dst_sel:DWORD dst_unused:UNUSED_PAD src0_sel:DWORD src1_sel:WORD_1
	v_mul_f16_sdwa v105, v104, v14 dst_sel:DWORD dst_unused:UNUSED_PAD src0_sel:DWORD src1_sel:WORD_1
	;; [unrolled: 1-line block ×3, first 2 shown]
	v_fma_f16 v16, v104, v14, -v16
	v_mul_f16_sdwa v104, v57, v12 dst_sel:DWORD dst_unused:UNUSED_PAD src0_sel:DWORD src1_sel:WORD_1
	v_fma_f16 v100, v100, v15, -v103
	v_mul_f16_sdwa v103, v107, v13 dst_sel:DWORD dst_unused:UNUSED_PAD src0_sel:DWORD src1_sel:WORD_1
	v_fmac_f16_e32 v105, v109, v14
	v_fmac_f16_e32 v106, v111, v15
	v_mul_f16_sdwa v14, v110, v12 dst_sel:DWORD dst_unused:UNUSED_PAD src0_sel:DWORD src1_sel:WORD_1
	v_mul_f16_sdwa v15, v112, v13 dst_sel:DWORD dst_unused:UNUSED_PAD src0_sel:DWORD src1_sel:WORD_1
	v_lshrrev_b32_e32 v108, 16, v115
	v_fmac_f16_e32 v104, v110, v12
	v_fmac_f16_e32 v103, v112, v13
	v_fma_f16 v12, v57, v12, -v14
	v_fma_f16 v13, v107, v13, -v15
	v_add_f16_e32 v14, v130, v131
	v_add_f16_e32 v15, v123, v124
	;; [unrolled: 1-line block ×4, first 2 shown]
	v_sub_f16_e32 v110, v123, v124
	v_sub_f16_e32 v111, v130, v131
	v_fmac_f16_e32 v115, -0.5, v14
	v_fmac_f16_e32 v108, -0.5, v15
	v_add_f16_e32 v14, v57, v131
	v_add_f16_e32 v15, v107, v124
	v_lshrrev_b32_e32 v109, 16, v116
	v_fmamk_f16 v107, v110, 0xbaee, v115
	v_fmamk_f16 v124, v111, 0x3aee, v108
	v_add_f16_e32 v112, v129, v0
	v_add_f16_e32 v130, v2, v3
	v_pack_b32_f16 v14, v14, v15
	v_add_f16_e32 v123, v116, v129
	v_pack_b32_f16 v15, v107, v124
	v_add_f16_e32 v57, v109, v2
	v_sub_f16_e32 v2, v2, v3
	v_fmac_f16_e32 v116, -0.5, v112
	v_fmac_f16_e32 v109, -0.5, v130
	ds_write2_b32 v114, v14, v15 offset1:3
	v_sub_f16_e32 v14, v129, v0
	v_fmac_f16_e32 v115, 0x3aee, v110
	v_fmac_f16_e32 v108, 0xbaee, v111
	v_add_f16_e32 v3, v57, v3
	v_mul_u32_u24_sdwa v15, v42, v58 dst_sel:DWORD dst_unused:UNUSED_PAD src0_sel:WORD_0 src1_sel:DWORD
	v_lshlrev_b32_sdwa v42, v91, v49 dst_sel:DWORD dst_unused:UNUSED_PAD src0_sel:DWORD src1_sel:BYTE_0
	v_add_f16_e32 v0, v123, v0
	v_fmamk_f16 v49, v2, 0xbaee, v116
	v_fmamk_f16 v58, v14, 0x3aee, v109
	v_pack_b32_f16 v57, v115, v108
	v_add3_u32 v15, 0, v15, v42
	v_pack_b32_f16 v0, v0, v3
	v_lshrrev_b32_e32 v3, 16, v117
	v_pack_b32_f16 v42, v49, v58
	v_fmac_f16_e32 v116, 0x3aee, v2
	v_add_f16_e32 v2, v125, v126
	v_add_f16_e32 v49, v93, v94
	ds_write_b32 v114, v57 offset:24
	v_fmac_f16_e32 v109, 0xbaee, v14
	v_add_f16_e32 v14, v3, v93
	v_add_f16_e32 v57, v117, v125
	v_fmac_f16_e32 v117, -0.5, v2
	v_sub_f16_e32 v2, v93, v94
	v_fmac_f16_e32 v3, -0.5, v49
	v_sub_f16_e32 v49, v125, v126
	v_add_f16_e32 v14, v14, v94
	v_add_f16_e32 v57, v57, v126
	v_fmamk_f16 v58, v2, 0xbaee, v117
	ds_write2_b32 v15, v0, v42 offset1:3
	v_fmamk_f16 v93, v49, 0x3aee, v3
	v_pack_b32_f16 v0, v116, v109
	v_fmac_f16_e32 v117, 0x3aee, v2
	v_lshrrev_b32_e32 v2, 16, v118
	v_pack_b32_f16 v14, v57, v14
	v_pack_b32_f16 v42, v58, v93
	ds_write_b32 v15, v0 offset:24
	ds_write2_b32 v23, v14, v42 offset1:3
	v_add_f16_e32 v0, v127, v4
	v_add_f16_e32 v14, v2, v1
	;; [unrolled: 1-line block ×3, first 2 shown]
	v_fmac_f16_e32 v3, 0xbaee, v49
	v_add_f16_e32 v15, v1, v9
	v_fmac_f16_e32 v118, -0.5, v0
	v_sub_f16_e32 v0, v1, v9
	v_add_f16_e32 v1, v14, v9
	v_sub_f16_e32 v9, v127, v4
	v_add_f16_e32 v4, v42, v4
	v_pack_b32_f16 v3, v117, v3
	v_fmac_f16_e32 v2, -0.5, v15
	v_mul_u32_u24_e32 v14, 36, v22
	v_lshlrev_b32_sdwa v15, v91, v53 dst_sel:DWORD dst_unused:UNUSED_PAD src0_sel:DWORD src1_sel:WORD_0
	v_pack_b32_f16 v1, v4, v1
	v_lshrrev_b32_e32 v4, 16, v119
	v_fmamk_f16 v22, v0, 0xbaee, v118
	v_fmamk_f16 v42, v9, 0x3aee, v2
	ds_write_b32 v23, v3 offset:24
	v_add3_u32 v3, 0, v14, v15
	v_fmac_f16_e32 v118, 0x3aee, v0
	v_add_f16_e32 v0, v97, v98
	v_fmac_f16_e32 v2, 0xbaee, v9
	v_add_f16_e32 v9, v4, v8
	v_add_f16_e32 v15, v8, v95
	v_pack_b32_f16 v14, v22, v42
	v_add_f16_e32 v22, v119, v97
	v_fmac_f16_e32 v119, -0.5, v0
	v_sub_f16_e32 v0, v8, v95
	v_add_f16_e32 v8, v9, v95
	v_fmac_f16_e32 v4, -0.5, v15
	v_sub_f16_e32 v9, v97, v98
	v_add_f16_e32 v15, v22, v98
	v_mul_u32_u24_e32 v22, 36, v44
	v_lshlrev_b32_sdwa v23, v91, v54 dst_sel:DWORD dst_unused:UNUSED_PAD src0_sel:DWORD src1_sel:WORD_0
	v_fmamk_f16 v42, v0, 0xbaee, v119
	v_fmamk_f16 v44, v9, 0x3aee, v4
	ds_write2_b32 v3, v1, v14 offset1:3
	v_pack_b32_f16 v1, v118, v2
	v_fmac_f16_e32 v119, 0x3aee, v0
	v_fmac_f16_e32 v4, 0xbaee, v9
	v_lshrrev_b32_e32 v0, 16, v120
	v_add3_u32 v2, 0, v22, v23
	v_pack_b32_f16 v8, v15, v8
	v_pack_b32_f16 v14, v42, v44
	ds_write_b32 v3, v1 offset:24
	ds_write2_b32 v2, v8, v14 offset1:3
	v_add_f16_e32 v1, v128, v10
	v_pack_b32_f16 v3, v119, v4
	v_add_f16_e32 v4, v0, v5
	v_add_f16_e32 v8, v5, v7
	;; [unrolled: 1-line block ×3, first 2 shown]
	v_fmac_f16_e32 v120, -0.5, v1
	v_sub_f16_e32 v1, v5, v7
	v_add_f16_e32 v4, v4, v7
	v_fmac_f16_e32 v0, -0.5, v8
	v_mul_u32_u24_e32 v7, 36, v50
	v_lshlrev_b32_sdwa v8, v91, v52 dst_sel:DWORD dst_unused:UNUSED_PAD src0_sel:DWORD src1_sel:WORD_0
	v_add_f16_e32 v9, v9, v10
	v_sub_f16_e32 v5, v128, v10
	v_fmamk_f16 v10, v1, 0xbaee, v120
	ds_write_b32 v2, v3 offset:24
	v_add3_u32 v2, 0, v7, v8
	v_pack_b32_f16 v3, v9, v4
	v_lshrrev_b32_e32 v4, 16, v122
	v_fmac_f16_e32 v120, 0x3aee, v1
	v_add_f16_e32 v1, v101, v102
	v_add_f16_e32 v8, v6, v96
	v_fmamk_f16 v14, v5, 0x3aee, v0
	v_fmac_f16_e32 v0, 0xbaee, v5
	v_add_f16_e32 v5, v4, v6
	v_add_f16_e32 v9, v122, v101
	v_fmac_f16_e32 v122, -0.5, v1
	v_sub_f16_e32 v1, v6, v96
	v_fmac_f16_e32 v4, -0.5, v8
	v_sub_f16_e32 v6, v101, v102
	v_pack_b32_f16 v7, v10, v14
	v_add_f16_e32 v5, v5, v96
	v_add_f16_e32 v8, v9, v102
	v_mul_u32_u24_e32 v9, 36, v43
	v_lshlrev_b32_sdwa v10, v91, v45 dst_sel:DWORD dst_unused:UNUSED_PAD src0_sel:DWORD src1_sel:WORD_0
	v_fmamk_f16 v14, v1, 0xbaee, v122
	v_fmamk_f16 v15, v6, 0x3aee, v4
	v_pack_b32_f16 v0, v120, v0
	v_fmac_f16_e32 v122, 0x3aee, v1
	v_fmac_f16_e32 v4, 0xbaee, v6
	v_lshrrev_b32_e32 v1, 16, v121
	ds_write2_b32 v2, v3, v7 offset1:3
	v_add3_u32 v3, 0, v9, v10
	v_pack_b32_f16 v5, v8, v5
	v_pack_b32_f16 v7, v14, v15
	ds_write_b32 v2, v0 offset:24
	ds_write2_b32 v3, v5, v7 offset1:3
	v_add_f16_e32 v0, v99, v56
	v_pack_b32_f16 v2, v122, v4
	v_add_f16_e32 v4, v1, v11
	v_add_f16_e32 v5, v11, v17
	;; [unrolled: 1-line block ×3, first 2 shown]
	v_fmac_f16_e32 v121, -0.5, v0
	v_sub_f16_e32 v0, v11, v17
	v_add_f16_e32 v4, v4, v17
	v_fmac_f16_e32 v1, -0.5, v5
	v_sub_f16_e32 v5, v99, v56
	v_mul_u32_u24_e32 v7, 36, v21
	v_lshlrev_b32_sdwa v8, v91, v51 dst_sel:DWORD dst_unused:UNUSED_PAD src0_sel:DWORD src1_sel:WORD_0
	v_add_f16_e32 v6, v6, v56
	v_fmamk_f16 v9, v0, 0xbaee, v121
	v_fmamk_f16 v10, v5, 0x3aee, v1
	ds_write_b32 v3, v2 offset:24
	v_add3_u32 v2, 0, v7, v8
	v_pack_b32_f16 v3, v6, v4
	v_lshrrev_b32_e32 v4, 16, v113
	v_fmac_f16_e32 v121, 0x3aee, v0
	v_add_f16_e32 v0, v105, v106
	v_fmac_f16_e32 v1, 0xbaee, v5
	v_add_f16_e32 v7, v16, v100
	v_add_f16_e32 v5, v4, v16
	;; [unrolled: 1-line block ×3, first 2 shown]
	v_fmac_f16_e32 v113, -0.5, v0
	v_sub_f16_e32 v0, v16, v100
	v_fmac_f16_e32 v4, -0.5, v7
	v_sub_f16_e32 v7, v105, v106
	v_pack_b32_f16 v1, v121, v1
	v_pack_b32_f16 v6, v9, v10
	v_add_f16_e32 v5, v5, v100
	v_add_f16_e32 v8, v8, v106
	v_mul_u32_u24_e32 v9, 36, v47
	v_lshlrev_b32_sdwa v10, v91, v48 dst_sel:DWORD dst_unused:UNUSED_PAD src0_sel:DWORD src1_sel:WORD_0
	v_fmamk_f16 v11, v0, 0xbaee, v113
	v_fmamk_f16 v14, v7, 0x3aee, v4
	v_fmac_f16_e32 v113, 0x3aee, v0
	v_fmac_f16_e32 v4, 0xbaee, v7
	ds_write_b32 v2, v1 offset:24
	v_add_f16_e32 v1, v104, v103
	ds_write2_b32 v2, v3, v6 offset1:3
	v_add3_u32 v3, 0, v9, v10
	v_pack_b32_f16 v5, v8, v5
	v_pack_b32_f16 v6, v11, v14
	v_lshrrev_b32_e32 v0, 16, v55
	v_pack_b32_f16 v2, v113, v4
	v_add_f16_e32 v4, v55, v104
	v_fmac_f16_e32 v55, -0.5, v1
	v_add_f16_e32 v1, v12, v13
	ds_write2_b32 v3, v5, v6 offset1:3
	v_add_f16_e32 v5, v0, v12
	v_sub_f16_e32 v6, v12, v13
	v_mul_lo_u16 v7, v18, 57
	v_mul_u32_u24_e32 v8, 36, v19
	v_lshlrev_b32_sdwa v9, v91, v20 dst_sel:DWORD dst_unused:UNUSED_PAD src0_sel:DWORD src1_sel:WORD_0
	v_fmac_f16_e32 v0, -0.5, v1
	v_sub_f16_e32 v1, v104, v103
	v_add_f16_e32 v5, v5, v13
	v_lshrrev_b16 v97, 9, v7
	v_add_f16_e32 v4, v4, v103
	v_add3_u32 v7, 0, v8, v9
	v_fmamk_f16 v8, v6, 0xbaee, v55
	v_fmamk_f16 v10, v1, 0x3aee, v0
	v_fmac_f16_e32 v55, 0x3aee, v6
	v_fmac_f16_e32 v0, 0xbaee, v1
	v_mul_lo_u16 v1, v92, 57
	v_mul_lo_u16 v9, v97, 9
	v_pack_b32_f16 v4, v4, v5
	v_pack_b32_f16 v6, v8, v10
	ds_write_b32 v3, v2 offset:24
	v_mov_b32_e32 v2, 0xe38f
	v_pack_b32_f16 v0, v55, v0
	v_lshrrev_b16 v95, 9, v1
	v_sub_nc_u16 v98, v24, v9
	v_mov_b32_e32 v5, 9
	ds_write2_b32 v7, v4, v6 offset1:3
	ds_write_b32 v7, v0 offset:24
	v_mul_u32_u24_sdwa v0, v38, v2 dst_sel:DWORD dst_unused:UNUSED_PAD src0_sel:WORD_0 src1_sel:DWORD
	v_mul_lo_u16 v3, v95, 9
	s_waitcnt lgkmcnt(0)
	v_mul_u32_u24_sdwa v1, v98, v5 dst_sel:DWORD dst_unused:UNUSED_PAD src0_sel:BYTE_0 src1_sel:DWORD
	s_barrier
	v_lshrrev_b32_e32 v94, 19, v0
	v_sub_nc_u16 v96, v26, v3
	buffer_gl0_inv
	v_lshlrev_b32_e32 v42, 2, v1
	v_mul_lo_u16 v1, v94, 9
	v_mul_u32_u24_sdwa v0, v96, v5 dst_sel:DWORD dst_unused:UNUSED_PAD src0_sel:BYTE_0 src1_sel:DWORD
	v_lshlrev_b32_sdwa v96, v91, v96 dst_sel:DWORD dst_unused:UNUSED_PAD src0_sel:DWORD src1_sel:BYTE_0
	global_load_dwordx4 v[12:15], v42, s[8:9] offset:24
	v_sub_nc_u16 v93, v38, v1
	v_lshlrev_b32_e32 v100, 2, v0
	v_mul_u32_u24_sdwa v0, v93, v5 dst_sel:DWORD dst_unused:UNUSED_PAD src0_sel:WORD_0 src1_sel:DWORD
	global_load_dwordx4 v[8:11], v100, s[8:9] offset:24
	v_lshlrev_b32_e32 v99, 2, v0
	s_clause 0x4
	global_load_dwordx4 v[4:7], v99, s[8:9] offset:24
	global_load_dwordx4 v[0:3], v42, s[8:9] offset:40
	;; [unrolled: 1-line block ×4, first 2 shown]
	global_load_dword v101, v42, s[8:9] offset:56
	v_add_nc_u32_e32 v42, 0xa00, v59
	ds_read_b32 v103, v88
	ds_read_b32 v102, v40
	ds_read2_b32 v[57:58], v74 offset0:16 offset1:124
	ds_read2_b32 v[55:56], v39 offset0:48 offset1:156
	;; [unrolled: 1-line block ×8, first 2 shown]
	ds_read_u16 v104, v41 offset:2
	ds_read_b32 v105, v41
	ds_read2_b32 v[43:44], v72 offset0:64 offset1:172
	ds_read2_b32 v[41:42], v73 offset0:72 offset1:180
	global_load_dword v106, v100, s[8:9] offset:56
	ds_read_b32 v100, v89
	s_waitcnt lgkmcnt(14)
	v_lshrrev_b32_e32 v107, 16, v103
	s_waitcnt lgkmcnt(13)
	v_lshrrev_b32_e32 v108, 16, v102
	;; [unrolled: 2-line block ×5, first 2 shown]
	v_lshrrev_b32_e32 v110, 16, v58
	s_waitcnt lgkmcnt(9)
	v_lshrrev_b32_e32 v113, 16, v51
	v_lshrrev_b32_e32 v116, 16, v52
	s_waitcnt lgkmcnt(8)
	v_lshrrev_b32_e32 v117, 16, v49
	;; [unrolled: 3-line block ×3, first 2 shown]
	s_waitcnt lgkmcnt(6)
	v_lshrrev_b32_e32 v120, 16, v40
	s_waitcnt lgkmcnt(5)
	v_lshrrev_b32_e32 v121, 16, v47
	v_lshrrev_b32_e32 v122, 16, v46
	;; [unrolled: 1-line block ×5, first 2 shown]
	s_waitcnt vmcnt(7)
	v_mul_f16_sdwa v126, v13, v108 dst_sel:DWORD dst_unused:UNUSED_PAD src0_sel:WORD_1 src1_sel:DWORD
	v_mul_f16_sdwa v127, v13, v102 dst_sel:DWORD dst_unused:UNUSED_PAD src0_sel:WORD_1 src1_sel:DWORD
	;; [unrolled: 1-line block ×4, first 2 shown]
	s_waitcnt lgkmcnt(4)
	v_mul_f16_sdwa v128, v104, v14 dst_sel:DWORD dst_unused:UNUSED_PAD src0_sel:DWORD src1_sel:WORD_1
	s_waitcnt lgkmcnt(3)
	v_mul_f16_sdwa v129, v14, v105 dst_sel:DWORD dst_unused:UNUSED_PAD src0_sel:WORD_1 src1_sel:DWORD
	v_mul_f16_sdwa v130, v57, v15 dst_sel:DWORD dst_unused:UNUSED_PAD src0_sel:DWORD src1_sel:WORD_1
	v_fmac_f16_e32 v126, v13, v102
	v_fma_f16 v108, v13, v108, -v127
	s_waitcnt vmcnt(6)
	v_mul_f16_sdwa v102, v111, v8 dst_sel:DWORD dst_unused:UNUSED_PAD src0_sel:DWORD src1_sel:WORD_1
	v_mul_f16_sdwa v127, v112, v9 dst_sel:DWORD dst_unused:UNUSED_PAD src0_sel:DWORD src1_sel:WORD_1
	;; [unrolled: 1-line block ×3, first 2 shown]
	v_fmac_f16_e32 v124, v12, v103
	v_mul_f16_sdwa v103, v110, v11 dst_sel:DWORD dst_unused:UNUSED_PAD src0_sel:DWORD src1_sel:WORD_1
	v_fma_f16 v107, v12, v107, -v125
	v_mul_f16_sdwa v125, v58, v11 dst_sel:DWORD dst_unused:UNUSED_PAD src0_sel:DWORD src1_sel:WORD_1
	v_mul_f16_sdwa v132, v55, v8 dst_sel:DWORD dst_unused:UNUSED_PAD src0_sel:DWORD src1_sel:WORD_1
	v_fmac_f16_e32 v128, v14, v105
	v_mul_f16_sdwa v105, v53, v9 dst_sel:DWORD dst_unused:UNUSED_PAD src0_sel:DWORD src1_sel:WORD_1
	v_fma_f16 v104, v104, v14, -v129
	v_fma_f16 v109, v109, v15, -v130
	v_mul_f16_sdwa v129, v51, v10 dst_sel:DWORD dst_unused:UNUSED_PAD src0_sel:DWORD src1_sel:WORD_1
	v_mul_f16_sdwa v130, v113, v10 dst_sel:DWORD dst_unused:UNUSED_PAD src0_sel:DWORD src1_sel:WORD_1
	s_waitcnt vmcnt(5)
	v_mul_f16_sdwa v13, v116, v6 dst_sel:DWORD dst_unused:UNUSED_PAD src0_sel:DWORD src1_sel:WORD_1
	v_fmac_f16_e32 v102, v55, v8
	v_fmac_f16_e32 v127, v53, v9
	s_waitcnt vmcnt(4)
	v_mul_f16_sdwa v53, v40, v2 dst_sel:DWORD dst_unused:UNUSED_PAD src0_sel:DWORD src1_sel:WORD_1
	v_mul_f16_sdwa v55, v47, v3 dst_sel:DWORD dst_unused:UNUSED_PAD src0_sel:DWORD src1_sel:WORD_1
	v_fmac_f16_e32 v103, v58, v11
	v_fma_f16 v110, v110, v11, -v125
	v_mul_f16_sdwa v125, v52, v6 dst_sel:DWORD dst_unused:UNUSED_PAD src0_sel:DWORD src1_sel:WORD_1
	v_fma_f16 v105, v112, v9, -v105
	v_mul_f16_sdwa v11, v117, v7 dst_sel:DWORD dst_unused:UNUSED_PAD src0_sel:DWORD src1_sel:WORD_1
	;; [unrolled: 2-line block ×3, first 2 shown]
	v_fmac_f16_e32 v130, v51, v10
	v_mul_f16_sdwa v9, v50, v0 dst_sel:DWORD dst_unused:UNUSED_PAD src0_sel:DWORD src1_sel:WORD_1
	v_mul_f16_sdwa v51, v119, v1 dst_sel:DWORD dst_unused:UNUSED_PAD src0_sel:DWORD src1_sel:WORD_1
	v_fmac_f16_e32 v13, v52, v6
	v_fma_f16 v52, v120, v2, -v53
	v_fma_f16 v53, v121, v3, -v55
	s_waitcnt vmcnt(3)
	v_mul_f16_sdwa v55, v122, v17 dst_sel:DWORD dst_unused:UNUSED_PAD src0_sel:DWORD src1_sel:WORD_1
	v_fmac_f16_e32 v131, v57, v15
	v_mul_f16_sdwa v12, v114, v4 dst_sel:DWORD dst_unused:UNUSED_PAD src0_sel:DWORD src1_sel:WORD_1
	v_mul_f16_sdwa v14, v115, v5 dst_sel:DWORD dst_unused:UNUSED_PAD src0_sel:DWORD src1_sel:WORD_1
	v_fma_f16 v57, v111, v8, -v132
	v_mul_f16_sdwa v111, v49, v7 dst_sel:DWORD dst_unused:UNUSED_PAD src0_sel:DWORD src1_sel:WORD_1
	v_mul_f16_sdwa v10, v45, v1 dst_sel:DWORD dst_unused:UNUSED_PAD src0_sel:DWORD src1_sel:WORD_1
	v_fmac_f16_e32 v11, v49, v7
	v_fmac_f16_e32 v113, v50, v0
	v_fma_f16 v49, v118, v0, -v9
	v_fmac_f16_e32 v51, v45, v1
	v_fmac_f16_e32 v55, v46, v17
	v_mul_f16_sdwa v0, v46, v17 dst_sel:DWORD dst_unused:UNUSED_PAD src0_sel:DWORD src1_sel:WORD_1
	ds_read2_b32 v[45:46], v70 offset0:120 offset1:228
	v_mul_f16_sdwa v15, v56, v4 dst_sel:DWORD dst_unused:UNUSED_PAD src0_sel:DWORD src1_sel:WORD_1
	v_mul_f16_sdwa v58, v54, v5 dst_sel:DWORD dst_unused:UNUSED_PAD src0_sel:DWORD src1_sel:WORD_1
	v_fmac_f16_e32 v12, v56, v4
	v_mul_f16_sdwa v56, v120, v2 dst_sel:DWORD dst_unused:UNUSED_PAD src0_sel:DWORD src1_sel:WORD_1
	v_fmac_f16_e32 v14, v54, v5
	v_mul_f16_sdwa v54, v121, v3 dst_sel:DWORD dst_unused:UNUSED_PAD src0_sel:DWORD src1_sel:WORD_1
	v_fma_f16 v8, v115, v5, -v58
	v_fma_f16 v50, v119, v1, -v10
	v_mul_f16_sdwa v58, v123, v19 dst_sel:DWORD dst_unused:UNUSED_PAD src0_sel:DWORD src1_sel:WORD_1
	v_fmac_f16_e32 v56, v40, v2
	v_fmac_f16_e32 v54, v47, v3
	v_mul_f16_sdwa v1, v48, v19 dst_sel:DWORD dst_unused:UNUSED_PAD src0_sel:DWORD src1_sel:WORD_1
	s_waitcnt lgkmcnt(3)
	v_lshrrev_b32_e32 v2, 16, v43
	v_mul_f16_sdwa v3, v43, v16 dst_sel:DWORD dst_unused:UNUSED_PAD src0_sel:DWORD src1_sel:WORD_1
	v_fmac_f16_e32 v58, v48, v19
	v_fma_f16 v40, v122, v17, -v0
	s_waitcnt lgkmcnt(2)
	v_lshrrev_b32_e32 v0, 16, v41
	v_fma_f16 v19, v123, v19, -v1
	v_fma_f16 v47, v2, v16, -v3
	v_mul_f16_sdwa v1, v41, v18 dst_sel:DWORD dst_unused:UNUSED_PAD src0_sel:DWORD src1_sel:WORD_1
	v_mul_f16_sdwa v48, v2, v16 dst_sel:DWORD dst_unused:UNUSED_PAD src0_sel:DWORD src1_sel:WORD_1
	v_lshrrev_b32_e32 v2, 16, v44
	v_lshrrev_b32_e32 v9, 16, v39
	v_fma_f16 v4, v114, v4, -v15
	v_fma_f16 v5, v116, v6, -v125
	ds_read_b32 v116, v68
	v_fma_f16 v6, v117, v7, -v111
	v_fma_f16 v114, v0, v18, -v1
	s_waitcnt vmcnt(2)
	v_mul_f16_sdwa v3, v2, v20 dst_sel:DWORD dst_unused:UNUSED_PAD src0_sel:DWORD src1_sel:WORD_1
	v_mul_f16_sdwa v7, v9, v21 dst_sel:DWORD dst_unused:UNUSED_PAD src0_sel:DWORD src1_sel:WORD_1
	;; [unrolled: 1-line block ×3, first 2 shown]
	s_waitcnt lgkmcnt(1)
	v_lshrrev_b32_e32 v17, 16, v45
	v_lshrrev_b32_e32 v10, 16, v42
	v_fmac_f16_e32 v48, v43, v16
	v_fmac_f16_e32 v3, v44, v20
	;; [unrolled: 1-line block ×3, first 2 shown]
	v_mul_f16_sdwa v16, v39, v21 dst_sel:DWORD dst_unused:UNUSED_PAD src0_sel:DWORD src1_sel:WORD_1
	v_mul_f16_sdwa v39, v42, v22 dst_sel:DWORD dst_unused:UNUSED_PAD src0_sel:DWORD src1_sel:WORD_1
	v_fma_f16 v1, v2, v20, -v1
	v_mul_f16_sdwa v20, v45, v23 dst_sel:DWORD dst_unused:UNUSED_PAD src0_sel:DWORD src1_sel:WORD_1
	v_mul_f16_sdwa v15, v17, v23 dst_sel:DWORD dst_unused:UNUSED_PAD src0_sel:DWORD src1_sel:WORD_1
	;; [unrolled: 1-line block ×4, first 2 shown]
	v_fma_f16 v2, v10, v22, -v39
	v_fma_f16 v10, v17, v23, -v20
	v_fmac_f16_e32 v15, v45, v23
	ds_read_b32 v23, v59
	v_fmac_f16_e32 v111, v41, v18
	v_lshrrev_b32_e32 v18, 16, v46
	v_fma_f16 v9, v9, v21, -v16
	s_waitcnt vmcnt(1)
	v_mul_f16_sdwa v16, v46, v101 dst_sel:DWORD dst_unused:UNUSED_PAD src0_sel:DWORD src1_sel:WORD_1
	v_fmac_f16_e32 v0, v42, v22
	v_sub_f16_e32 v17, v126, v131
	v_mul_f16_sdwa v41, v18, v101 dst_sel:DWORD dst_unused:UNUSED_PAD src0_sel:DWORD src1_sel:WORD_1
	v_sub_f16_e32 v20, v54, v51
	v_sub_f16_e32 v21, v108, v109
	;; [unrolled: 1-line block ×3, first 2 shown]
	v_fma_f16 v18, v18, v101, -v16
	v_fmac_f16_e32 v41, v46, v101
	v_add_f16_e32 v16, v49, v52
	v_add_f16_e32 v20, v17, v20
	;; [unrolled: 1-line block ×3, first 2 shown]
	v_sub_f16_e32 v17, v128, v113
	v_add_f16_e32 v22, v113, v56
	v_fma_f16 v39, -0.5, v16, v107
	v_sub_f16_e32 v42, v128, v41
	v_sub_f16_e32 v101, v41, v56
	s_waitcnt lgkmcnt(0)
	v_lshrrev_b32_e32 v117, 16, v23
	v_sub_f16_e32 v16, v104, v49
	v_sub_f16_e32 v43, v18, v52
	v_fma_f16 v22, -0.5, v22, v124
	v_sub_f16_e32 v44, v104, v18
	v_fmamk_f16 v45, v42, 0x3b9c, v39
	v_sub_f16_e32 v46, v113, v56
	v_add_f16_e32 v101, v17, v101
	v_add_f16_e32 v17, v23, v126
	;; [unrolled: 1-line block ×6, first 2 shown]
	v_fmamk_f16 v16, v44, 0xbb9c, v22
	v_sub_f16_e32 v115, v49, v52
	v_fmac_f16_e32 v45, 0x38b4, v46
	v_add_f16_e32 v17, v17, v131
	v_add_f16_e32 v118, v118, v109
	;; [unrolled: 1-line block ×4, first 2 shown]
	v_fmac_f16_e32 v16, 0xb8b4, v115
	v_fmac_f16_e32 v45, 0x34f2, v43
	v_add_f16_e32 v17, v17, v51
	v_add_f16_e32 v118, v118, v50
	;; [unrolled: 1-line block ×4, first 2 shown]
	v_fmac_f16_e32 v16, 0x34f2, v101
	v_mul_f16_e32 v121, 0xb8b4, v45
	v_mov_b32_e32 v122, 0x168
	v_add_f16_e32 v123, v17, v54
	v_add_f16_e32 v118, v118, v53
	;; [unrolled: 1-line block ×4, first 2 shown]
	v_mul_f16_e32 v45, 0x3a79, v45
	v_mul_u32_u24_sdwa v17, v97, v122 dst_sel:DWORD dst_unused:UNUSED_PAD src0_sel:WORD_0 src1_sel:DWORD
	v_lshlrev_b32_sdwa v97, v91, v98 dst_sel:DWORD dst_unused:UNUSED_PAD src0_sel:DWORD src1_sel:BYTE_0
	v_add_f16_e32 v98, v123, v119
	v_add_f16_e32 v125, v118, v120
	;; [unrolled: 1-line block ×3, first 2 shown]
	v_fmac_f16_e32 v121, 0x3a79, v16
	v_fmac_f16_e32 v45, 0x38b4, v16
	v_add_f16_e32 v16, v109, v50
	v_add3_u32 v97, 0, v17, v97
	v_pack_b32_f16 v98, v98, v125
	v_fma_f16 v125, -0.5, v129, v23
	v_sub_f16_e32 v129, v126, v54
	v_sub_f16_e32 v132, v131, v51
	;; [unrolled: 1-line block ×3, first 2 shown]
	v_add_f16_e32 v126, v126, v54
	v_sub_f16_e32 v51, v51, v54
	v_sub_f16_e32 v54, v108, v53
	v_fma_f16 v131, -0.5, v16, v117
	v_sub_f16_e32 v134, v109, v50
	v_fmac_f16_e32 v23, -0.5, v126
	v_sub_f16_e32 v50, v50, v53
	v_fmamk_f16 v133, v54, 0xbb9c, v125
	v_fmamk_f16 v135, v129, 0x3b9c, v131
	v_sub_f16_e32 v49, v49, v104
	v_fmac_f16_e32 v39, 0xbb9c, v42
	v_fmac_f16_e32 v22, 0x3b9c, v44
	;; [unrolled: 1-line block ×12, first 2 shown]
	v_add_f16_e32 v16, v133, v121
	v_add_f16_e32 v136, v135, v45
	v_fmac_f16_e32 v131, 0xb8b4, v132
	v_fmac_f16_e32 v22, 0x34f2, v101
	v_mul_f16_e32 v43, 0xb8b4, v39
	v_mul_f16_e32 v39, 0xba79, v39
	v_pack_b32_f16 v136, v16, v136
	v_add_f16_e32 v16, v17, v51
	v_add_f16_e32 v51, v108, v53
	v_sub_f16_e32 v17, v109, v108
	v_fmamk_f16 v53, v134, 0x3b9c, v23
	v_fmac_f16_e32 v23, 0xbb9c, v134
	v_fmac_f16_e32 v125, 0x34f2, v20
	v_fmac_f16_e32 v117, -0.5, v51
	global_load_dword v51, v99, s[8:9] offset:56
	v_fmac_f16_e32 v53, 0xb8b4, v54
	v_fmac_f16_e32 v23, 0x38b4, v54
	v_add_f16_e32 v50, v17, v50
	v_add_f16_e32 v17, v104, v18
	v_sub_f16_e32 v18, v52, v18
	v_fmac_f16_e32 v53, 0x34f2, v16
	v_fmac_f16_e32 v23, 0x34f2, v16
	v_add_f16_e32 v16, v128, v41
	v_fmac_f16_e32 v107, -0.5, v17
	v_sub_f16_e32 v99, v113, v128
	v_sub_f16_e32 v41, v56, v41
	v_fmamk_f16 v56, v132, 0xbb9c, v117
	v_fmac_f16_e32 v124, -0.5, v16
	v_fmamk_f16 v52, v46, 0xbb9c, v107
	v_fmac_f16_e32 v107, 0x3b9c, v46
	v_fmac_f16_e32 v117, 0x3b9c, v132
	v_add_f16_e32 v18, v49, v18
	v_fmamk_f16 v104, v115, 0x3b9c, v124
	v_fmac_f16_e32 v52, 0x38b4, v42
	v_fmac_f16_e32 v124, 0xbb9c, v115
	;; [unrolled: 1-line block ×5, first 2 shown]
	v_add_f16_e32 v41, v99, v41
	v_fmac_f16_e32 v104, 0xb8b4, v44
	v_fmac_f16_e32 v52, 0x34f2, v18
	;; [unrolled: 1-line block ×4, first 2 shown]
	ds_read2_b32 v[16:17], v77 offset0:80 offset1:188
	v_fmac_f16_e32 v56, 0x34f2, v50
	v_fmac_f16_e32 v117, 0x34f2, v50
	;; [unrolled: 1-line block ×3, first 2 shown]
	v_mul_f16_e32 v49, 0xbb9c, v52
	v_mul_f16_e32 v50, 0x34f2, v52
	v_fmac_f16_e32 v124, 0x34f2, v41
	v_mul_f16_e32 v18, 0xbb9c, v107
	v_mul_f16_e32 v41, 0xb4f2, v107
	v_fmac_f16_e32 v49, 0x34f2, v104
	v_fmac_f16_e32 v50, 0x3b9c, v104
	;; [unrolled: 1-line block ×7, first 2 shown]
	v_add_f16_e32 v42, v53, v49
	v_add_f16_e32 v44, v56, v50
	;; [unrolled: 1-line block ×6, first 2 shown]
	v_sub_f16_e32 v22, v123, v119
	v_sub_f16_e32 v54, v118, v120
	v_pack_b32_f16 v42, v42, v44
	v_pack_b32_f16 v20, v20, v21
	v_pack_b32_f16 v21, v46, v52
	v_sub_f16_e32 v44, v133, v121
	v_sub_f16_e32 v46, v53, v49
	;; [unrolled: 1-line block ×4, first 2 shown]
	v_pack_b32_f16 v22, v22, v54
	s_waitcnt vmcnt(0) lgkmcnt(0)
	s_barrier
	buffer_gl0_inv
	ds_write2_b32 v97, v98, v136 offset1:9
	ds_write2_b32 v97, v42, v20 offset0:18 offset1:27
	ds_write2_b32 v97, v21, v22 offset0:36 offset1:45
	v_pack_b32_f16 v20, v44, v45
	v_pack_b32_f16 v21, v46, v49
	v_lshrrev_b32_e32 v22, 16, v16
	v_sub_f16_e32 v18, v23, v18
	v_sub_f16_e32 v23, v125, v43
	v_sub_f16_e32 v41, v117, v41
	v_sub_f16_e32 v39, v131, v39
	ds_write2_b32 v97, v20, v21 offset0:54 offset1:63
	v_mul_f16_sdwa v20, v22, v106 dst_sel:DWORD dst_unused:UNUSED_PAD src0_sel:DWORD src1_sel:WORD_1
	v_mul_f16_sdwa v21, v16, v106 dst_sel:DWORD dst_unused:UNUSED_PAD src0_sel:DWORD src1_sel:WORD_1
	v_pack_b32_f16 v18, v18, v41
	v_pack_b32_f16 v23, v23, v39
	v_add_f16_e32 v39, v47, v114
	v_fmac_f16_e32 v20, v16, v106
	v_lshrrev_b32_e32 v52, 16, v116
	v_fma_f16 v16, v22, v106, -v21
	v_add_f16_e32 v22, v48, v111
	v_fma_f16 v39, -0.5, v39, v57
	v_sub_f16_e32 v41, v130, v20
	ds_write2_b32 v97, v18, v23 offset0:72 offset1:81
	v_add_f16_e32 v56, v116, v127
	v_add_f16_e32 v97, v52, v105
	;; [unrolled: 1-line block ×4, first 2 shown]
	v_sub_f16_e32 v21, v130, v48
	v_sub_f16_e32 v42, v112, v47
	;; [unrolled: 1-line block ×3, first 2 shown]
	v_fma_f16 v22, -0.5, v22, v102
	v_sub_f16_e32 v44, v112, v16
	v_fmamk_f16 v45, v41, 0x3b9c, v39
	v_sub_f16_e32 v46, v48, v111
	v_sub_f16_e32 v49, v20, v111
	;; [unrolled: 1-line block ×4, first 2 shown]
	v_add_f16_e32 v56, v56, v103
	v_add_f16_e32 v97, v97, v110
	;; [unrolled: 1-line block ×5, first 2 shown]
	v_fmamk_f16 v43, v44, 0xbb9c, v22
	v_sub_f16_e32 v50, v47, v114
	v_fmac_f16_e32 v45, 0x38b4, v46
	v_add_f16_e32 v21, v21, v49
	v_sub_f16_e32 v49, v105, v110
	v_sub_f16_e32 v53, v19, v40
	v_add_f16_e32 v18, v18, v23
	v_add_f16_e32 v23, v56, v55
	;; [unrolled: 1-line block ×5, first 2 shown]
	v_fmac_f16_e32 v43, 0xb8b4, v50
	v_fmac_f16_e32 v45, 0x34f2, v42
	v_add_f16_e32 v49, v49, v53
	v_add_f16_e32 v23, v23, v58
	;; [unrolled: 1-line block ×5, first 2 shown]
	v_fmac_f16_e32 v43, 0x34f2, v21
	v_mul_f16_e32 v54, 0xb8b4, v45
	v_mul_f16_e32 v45, 0x3a79, v45
	v_mul_u32_u24_sdwa v95, v95, v122 dst_sel:DWORD dst_unused:UNUSED_PAD src0_sel:WORD_0 src1_sel:DWORD
	v_add_f16_e32 v98, v23, v56
	v_add_f16_e32 v99, v53, v97
	;; [unrolled: 1-line block ×3, first 2 shown]
	v_fmac_f16_e32 v54, 0x3a79, v43
	v_add_f16_e32 v104, v127, v58
	v_fmac_f16_e32 v45, 0x38b4, v43
	v_add3_u32 v43, 0, v95, v96
	v_pack_b32_f16 v95, v98, v99
	v_fma_f16 v96, -0.5, v101, v116
	v_sub_f16_e32 v99, v127, v58
	v_sub_f16_e32 v101, v103, v127
	v_sub_f16_e32 v58, v55, v58
	v_fmac_f16_e32 v116, -0.5, v104
	v_sub_f16_e32 v104, v105, v19
	v_sub_f16_e32 v55, v103, v55
	;; [unrolled: 1-line block ×3, first 2 shown]
	v_add_f16_e32 v58, v101, v58
	v_add_f16_e32 v101, v110, v40
	;; [unrolled: 1-line block ×3, first 2 shown]
	v_sub_f16_e32 v98, v110, v40
	v_sub_f16_e32 v19, v40, v19
	;; [unrolled: 1-line block ×3, first 2 shown]
	v_fma_f16 v40, -0.5, v101, v52
	v_fmac_f16_e32 v52, -0.5, v105
	v_add_f16_e32 v105, v112, v16
	v_add_f16_e32 v101, v130, v20
	v_sub_f16_e32 v20, v111, v20
	v_fmamk_f16 v106, v98, 0x3b9c, v116
	v_fmac_f16_e32 v116, 0xbb9c, v98
	v_fmac_f16_e32 v57, -0.5, v105
	v_fmac_f16_e32 v102, -0.5, v101
	v_sub_f16_e32 v47, v47, v112
	v_sub_f16_e32 v16, v114, v16
	v_add_f16_e32 v20, v48, v20
	v_fmamk_f16 v48, v46, 0xbb9c, v57
	v_fmac_f16_e32 v57, 0x3b9c, v46
	v_fmac_f16_e32 v39, 0xbb9c, v41
	;; [unrolled: 1-line block ×4, first 2 shown]
	v_add_f16_e32 v16, v47, v16
	v_fmamk_f16 v47, v50, 0x3b9c, v102
	v_fmac_f16_e32 v48, 0x38b4, v41
	v_fmac_f16_e32 v102, 0xbb9c, v50
	;; [unrolled: 1-line block ×7, first 2 shown]
	v_add_f16_e32 v19, v103, v19
	v_fmamk_f16 v58, v104, 0xbb9c, v96
	v_fmamk_f16 v103, v99, 0x3b9c, v40
	;; [unrolled: 1-line block ×3, first 2 shown]
	v_fmac_f16_e32 v47, 0xb8b4, v44
	v_fmac_f16_e32 v48, 0x34f2, v16
	v_fmac_f16_e32 v102, 0x38b4, v44
	v_fmac_f16_e32 v52, 0x3b9c, v55
	v_fmac_f16_e32 v57, 0x34f2, v16
	v_fmac_f16_e32 v96, 0x3b9c, v104
	v_fmac_f16_e32 v40, 0xbb9c, v99
	v_fmac_f16_e32 v22, 0x38b4, v50
	v_fmac_f16_e32 v39, 0x34f2, v42
	v_fmac_f16_e32 v58, 0xb8b4, v98
	v_fmac_f16_e32 v103, 0x38b4, v55
	v_fmac_f16_e32 v101, 0x38b4, v99
	v_fmac_f16_e32 v47, 0x34f2, v20
	v_mul_f16_e32 v16, 0xbb9c, v48
	v_fmac_f16_e32 v102, 0x34f2, v20
	v_mul_f16_e32 v20, 0x34f2, v48
	v_fmac_f16_e32 v52, 0xb8b4, v99
	v_mul_f16_e32 v48, 0xbb9c, v57
	v_mul_f16_e32 v41, 0xb4f2, v57
	v_fmac_f16_e32 v96, 0x38b4, v98
	v_fmac_f16_e32 v40, 0xb8b4, v55
	;; [unrolled: 1-line block ×3, first 2 shown]
	v_mul_f16_e32 v21, 0xb8b4, v39
	v_mul_f16_e32 v39, 0xba79, v39
	v_fmac_f16_e32 v58, 0x34f2, v18
	v_fmac_f16_e32 v103, 0x34f2, v49
	;; [unrolled: 1-line block ×12, first 2 shown]
	v_add_f16_e32 v105, v58, v54
	v_add_f16_e32 v19, v103, v45
	;; [unrolled: 1-line block ×6, first 2 shown]
	v_sub_f16_e32 v23, v23, v56
	v_add_f16_e32 v46, v96, v21
	v_add_f16_e32 v47, v40, v39
	v_sub_f16_e32 v49, v53, v97
	v_pack_b32_f16 v19, v105, v19
	v_pack_b32_f16 v42, v42, v44
	v_sub_f16_e32 v44, v58, v54
	v_sub_f16_e32 v16, v106, v16
	;; [unrolled: 1-line block ×4, first 2 shown]
	v_pack_b32_f16 v18, v18, v22
	v_pack_b32_f16 v22, v46, v47
	;; [unrolled: 1-line block ×3, first 2 shown]
	ds_write2_b32 v43, v95, v19 offset1:9
	ds_write2_b32 v43, v42, v18 offset0:18 offset1:27
	ds_write2_b32 v43, v22, v23 offset0:36 offset1:45
	v_pack_b32_f16 v18, v44, v45
	v_pack_b32_f16 v16, v16, v20
	v_lshrrev_b32_e32 v20, 16, v17
	v_sub_f16_e32 v19, v116, v48
	v_sub_f16_e32 v22, v52, v41
	;; [unrolled: 1-line block ×3, first 2 shown]
	ds_write2_b32 v43, v18, v16 offset0:54 offset1:63
	v_sub_f16_e32 v23, v40, v39
	v_sub_f16_e32 v39, v5, v1
	v_pack_b32_f16 v19, v19, v22
	v_add_f16_e32 v22, v1, v2
	v_sub_f16_e32 v44, v3, v0
	v_pack_b32_f16 v21, v21, v23
	v_sub_f16_e32 v46, v1, v2
	v_add_f16_e32 v52, v11, v7
	v_fma_f16 v22, -0.5, v22, v4
	v_add_f16_e32 v96, v14, v15
	ds_write2_b32 v43, v19, v21 offset0:72 offset1:81
	v_sub_f16_e32 v19, v14, v11
	v_sub_f16_e32 v21, v15, v7
	v_fma_f16 v52, -0.5, v52, v100
	v_sub_f16_e32 v57, v6, v9
	v_sub_f16_e32 v43, v8, v6
	;; [unrolled: 1-line block ×3, first 2 shown]
	v_add_f16_e32 v19, v19, v21
	v_lshrrev_b32_e32 v21, 16, v100
	v_sub_f16_e32 v55, v14, v15
	v_add_f16_e32 v50, v4, v5
	v_add_f16_e32 v53, v6, v9
	;; [unrolled: 1-line block ×3, first 2 shown]
	v_fmamk_f16 v56, v54, 0xbb9c, v52
	v_mul_u32_u24_e32 v49, 0x168, v94
	v_add_f16_e32 v50, v50, v1
	v_fma_f16 v53, -0.5, v53, v21
	v_add_f16_e32 v48, v48, v3
	v_sub_f16_e32 v1, v1, v5
	v_fmac_f16_e32 v56, 0xb8b4, v57
	v_add_f16_e32 v50, v50, v2
	v_fmamk_f16 v58, v55, 0x3b9c, v53
	v_add_f16_e32 v48, v48, v0
	v_fmac_f16_e32 v52, 0x3b9c, v54
	v_fmac_f16_e32 v56, 0x34f2, v19
	;; [unrolled: 1-line block ×5, first 2 shown]
	v_mul_f16_sdwa v16, v20, v51 dst_sel:DWORD dst_unused:UNUSED_PAD src0_sel:DWORD src1_sel:WORD_1
	v_mul_f16_sdwa v18, v17, v51 dst_sel:DWORD dst_unused:UNUSED_PAD src0_sel:DWORD src1_sel:WORD_1
	v_fmac_f16_e32 v16, v17, v51
	v_fma_f16 v17, v20, v51, -v18
	v_add_f16_e32 v20, v3, v0
	v_sub_f16_e32 v18, v13, v3
	v_lshlrev_b32_sdwa v51, v91, v93 dst_sel:DWORD dst_unused:UNUSED_PAD src0_sel:DWORD src1_sel:WORD_0
	v_sub_f16_e32 v23, v13, v16
	v_sub_f16_e32 v40, v17, v2
	v_fma_f16 v20, -0.5, v20, v12
	v_sub_f16_e32 v41, v5, v17
	v_sub_f16_e32 v45, v16, v0
	v_fmamk_f16 v42, v23, 0x3b9c, v22
	v_add_f16_e32 v39, v39, v40
	v_sub_f16_e32 v93, v11, v7
	v_fmamk_f16 v40, v41, 0xbb9c, v20
	v_add_f16_e32 v18, v18, v45
	v_fmac_f16_e32 v42, 0x38b4, v44
	v_sub_f16_e32 v45, v10, v9
	v_sub_f16_e32 v2, v2, v17
	v_fmac_f16_e32 v40, 0xb8b4, v46
	v_fmac_f16_e32 v22, 0xbb9c, v23
	v_fmac_f16_e32 v42, 0x34f2, v39
	v_add_f16_e32 v43, v43, v45
	v_add_f16_e32 v45, v21, v8
	v_fmac_f16_e32 v40, 0x34f2, v18
	v_sub_f16_e32 v3, v3, v13
	v_mul_f16_e32 v47, 0xb8b4, v42
	v_mul_f16_e32 v42, 0x3a79, v42
	v_add_f16_e32 v45, v45, v6
	v_sub_f16_e32 v6, v6, v8
	v_add_f16_e32 v8, v8, v10
	v_fmac_f16_e32 v47, 0x3a79, v40
	v_fmac_f16_e32 v42, 0x38b4, v40
	v_add_f16_e32 v40, v100, v14
	v_fmac_f16_e32 v100, -0.5, v96
	v_fmac_f16_e32 v21, -0.5, v8
	v_add_f16_e32 v8, v13, v16
	v_add_f16_e32 v45, v45, v9
	;; [unrolled: 1-line block ×3, first 2 shown]
	v_sub_f16_e32 v11, v11, v14
	v_sub_f16_e32 v9, v9, v10
	v_fmac_f16_e32 v12, -0.5, v8
	v_sub_f16_e32 v0, v0, v16
	v_add_f16_e32 v40, v40, v7
	v_sub_f16_e32 v7, v7, v15
	v_add_f16_e32 v1, v1, v2
	v_add_f16_e32 v45, v45, v10
	;; [unrolled: 1-line block ×4, first 2 shown]
	v_fmamk_f16 v15, v57, 0x3b9c, v100
	v_fmac_f16_e32 v100, 0xbb9c, v57
	v_add_f16_e32 v7, v11, v7
	v_add_f16_e32 v50, v50, v17
	v_fmac_f16_e32 v58, 0x38b4, v93
	v_fmac_f16_e32 v15, 0xb8b4, v54
	v_fmac_f16_e32 v100, 0x38b4, v54
	v_add_f16_e32 v6, v6, v9
	v_fmamk_f16 v9, v93, 0xbb9c, v21
	v_fmac_f16_e32 v21, 0x3b9c, v93
	v_fmac_f16_e32 v15, 0x34f2, v7
	;; [unrolled: 1-line block ×3, first 2 shown]
	v_add_f16_e32 v7, v5, v17
	v_fmac_f16_e32 v20, 0x3b9c, v41
	v_fmac_f16_e32 v22, 0xb8b4, v44
	v_add_f16_e32 v0, v3, v0
	v_add_f16_e32 v94, v40, v48
	v_fmac_f16_e32 v4, -0.5, v7
	v_fmamk_f16 v7, v46, 0x3b9c, v12
	v_fmac_f16_e32 v12, 0xbb9c, v46
	v_add_f16_e32 v95, v45, v50
	v_fmac_f16_e32 v58, 0x34f2, v43
	v_fmamk_f16 v5, v44, 0xbb9c, v4
	v_fmac_f16_e32 v4, 0x3b9c, v44
	v_fmac_f16_e32 v7, 0xb8b4, v41
	;; [unrolled: 1-line block ×13, first 2 shown]
	v_add3_u32 v49, 0, v49, v51
	v_mul_f16_e32 v1, 0xbb9c, v5
	v_mul_f16_e32 v0, 0x34f2, v5
	v_mul_f16_e32 v2, 0xbb9c, v4
	v_mul_f16_e32 v3, 0xb4f2, v4
	v_pack_b32_f16 v51, v94, v95
	v_add_f16_e32 v14, v56, v47
	v_add_f16_e32 v94, v58, v42
	v_fmac_f16_e32 v9, 0x34f2, v6
	v_fmac_f16_e32 v21, 0x34f2, v6
	;; [unrolled: 1-line block ×4, first 2 shown]
	v_mul_f16_e32 v5, 0xb8b4, v22
	v_mul_f16_e32 v6, 0xba79, v22
	v_fmac_f16_e32 v1, 0x34f2, v7
	v_fmac_f16_e32 v0, 0x3b9c, v7
	;; [unrolled: 1-line block ×4, first 2 shown]
	v_pack_b32_f16 v10, v14, v94
	v_fmac_f16_e32 v53, 0x34f2, v43
	v_fmac_f16_e32 v5, 0xba79, v20
	;; [unrolled: 1-line block ×3, first 2 shown]
	v_add_nc_u32_e32 v14, 0xffffffa6, v24
	v_add_f16_e32 v4, v15, v1
	v_add_f16_e32 v7, v9, v0
	;; [unrolled: 1-line block ×4, first 2 shown]
	ds_write2_b32 v49, v51, v10 offset1:9
	v_add_f16_e32 v10, v52, v5
	v_add_f16_e32 v12, v53, v6
	v_cndmask_b32_e64 v44, v14, v24, s0
	v_pack_b32_f16 v4, v4, v7
	v_pack_b32_f16 v7, v8, v11
	v_sub_f16_e32 v8, v40, v48
	v_sub_f16_e32 v11, v45, v50
	v_pack_b32_f16 v10, v10, v12
	v_sub_f16_e32 v12, v56, v47
	v_sub_f16_e32 v13, v58, v42
	;; [unrolled: 1-line block ×8, first 2 shown]
	v_mul_i32_i24_e32 v19, 5, v44
	v_mov_b32_e32 v20, 0
	v_pack_b32_f16 v8, v8, v11
	v_pack_b32_f16 v9, v12, v13
	;; [unrolled: 1-line block ×5, first 2 shown]
	v_lshlrev_b64 v[0:1], 2, v[19:20]
	ds_write2_b32 v49, v4, v7 offset0:18 offset1:27
	ds_write2_b32 v49, v10, v8 offset0:36 offset1:45
	;; [unrolled: 1-line block ×4, first 2 shown]
	v_mul_lo_u16 v2, 0xb7, v92
	s_waitcnt lgkmcnt(0)
	s_barrier
	v_add_co_u32 v47, s0, s8, v0
	v_add_co_ci_u32_e64 v48, s0, s9, v1, s0
	v_lshrrev_b16 v42, 14, v2
	buffer_gl0_inv
	v_mov_b32_e32 v13, 0x2d83
	global_load_dwordx4 v[0:3], v[47:48], off offset:348
	v_mov_b32_e32 v12, 5
	v_mul_lo_u16 v4, 0x5a, v42
	v_cmp_lt_u32_e64 s0, 0x59, v24
	v_mul_u32_u24_sdwa v5, v38, v13 dst_sel:DWORD dst_unused:UNUSED_PAD src0_sel:WORD_0 src1_sel:DWORD
	v_mul_u32_u24_sdwa v9, v37, v13 dst_sel:DWORD dst_unused:UNUSED_PAD src0_sel:WORD_0 src1_sel:DWORD
	;; [unrolled: 1-line block ×3, first 2 shown]
	v_sub_nc_u16 v43, v26, v4
	v_lshrrev_b32_e32 v40, 20, v5
	v_lshrrev_b32_e32 v21, 20, v9
	;; [unrolled: 1-line block ×3, first 2 shown]
	v_mul_u32_u24_sdwa v4, v43, v12 dst_sel:DWORD dst_unused:UNUSED_PAD src0_sel:BYTE_0 src1_sel:DWORD
	v_lshlrev_b32_sdwa v43, v91, v43 dst_sel:DWORD dst_unused:UNUSED_PAD src0_sel:DWORD src1_sel:BYTE_0
	v_mul_lo_u16 v8, 0x5a, v40
	v_mul_lo_u16 v14, 0x5a, v21
	;; [unrolled: 1-line block ×3, first 2 shown]
	v_lshlrev_b32_e32 v45, 2, v4
	v_mul_u32_u24_e32 v40, 0x870, v40
	v_sub_nc_u16 v41, v38, v8
	v_sub_nc_u16 v22, v37, v14
	;; [unrolled: 1-line block ×3, first 2 shown]
	global_load_dwordx4 v[4:7], v45, s[8:9] offset:348
	v_mul_u32_u24_sdwa v8, v41, v12 dst_sel:DWORD dst_unused:UNUSED_PAD src0_sel:WORD_0 src1_sel:DWORD
	v_mul_u32_u24_sdwa v14, v22, v12 dst_sel:DWORD dst_unused:UNUSED_PAD src0_sel:WORD_0 src1_sel:DWORD
	v_mul_u32_u24_sdwa v12, v39, v12 dst_sel:DWORD dst_unused:UNUSED_PAD src0_sel:WORD_0 src1_sel:DWORD
	v_lshlrev_b32_sdwa v41, v91, v41 dst_sel:DWORD dst_unused:UNUSED_PAD src0_sel:DWORD src1_sel:WORD_0
	v_lshlrev_b32_e32 v46, 2, v8
	v_lshlrev_b32_e32 v52, 2, v14
	;; [unrolled: 1-line block ×3, first 2 shown]
	v_add3_u32 v40, 0, v40, v41
	s_clause 0x5
	global_load_dwordx4 v[8:11], v46, s[8:9] offset:348
	global_load_dwordx4 v[16:19], v52, s[8:9] offset:348
	;; [unrolled: 1-line block ×3, first 2 shown]
	global_load_dword v57, v[47:48], off offset:364
	global_load_dword v58, v45, s[8:9] offset:364
	global_load_dword v92, v46, s[8:9] offset:364
	ds_read_b32 v53, v90
	ds_read2_b32 v[46:47], v78 offset0:56 offset1:164
	ds_read2_b32 v[48:49], v76 offset0:104 offset1:212
	;; [unrolled: 1-line block ×3, first 2 shown]
	ds_read_b32 v45, v87
	ds_read_u16 v93, v59 offset:6482
	global_load_dword v94, v52, s[8:9] offset:364
	s_waitcnt lgkmcnt(5)
	v_lshrrev_b32_e32 v54, 16, v53
	s_waitcnt lgkmcnt(4)
	v_lshrrev_b32_e32 v55, 16, v46
	v_lshrrev_b32_e32 v105, 16, v47
	s_waitcnt lgkmcnt(2)
	v_lshrrev_b32_e32 v106, 16, v51
	s_waitcnt vmcnt(8)
	v_mul_f16_sdwa v95, v0, v54 dst_sel:DWORD dst_unused:UNUSED_PAD src0_sel:WORD_1 src1_sel:DWORD
	v_mul_f16_sdwa v52, v0, v53 dst_sel:DWORD dst_unused:UNUSED_PAD src0_sel:WORD_1 src1_sel:DWORD
	;; [unrolled: 1-line block ×5, first 2 shown]
	v_fmac_f16_e32 v95, v0, v53
	v_fma_f16 v98, v0, v54, -v52
	ds_read2_b32 v[52:53], v75 offset0:136 offset1:244
	v_fma_f16 v96, v1, v55, -v96
	ds_read2_b32 v[54:55], v72 offset0:64 offset1:172
	ds_read_b32 v101, v68
	ds_read_b32 v102, v89
	;; [unrolled: 1-line block ×4, first 2 shown]
	v_lshrrev_b32_e32 v0, 16, v50
	s_waitcnt lgkmcnt(6)
	v_fma_f16 v97, v93, v2, -v97
	v_mul_f16_sdwa v93, v93, v2 dst_sel:DWORD dst_unused:UNUSED_PAD src0_sel:DWORD src1_sel:WORD_1
	v_fmac_f16_e32 v99, v1, v46
	v_mul_f16_sdwa v100, v50, v3 dst_sel:DWORD dst_unused:UNUSED_PAD src0_sel:DWORD src1_sel:WORD_1
	v_mul_f16_sdwa v107, v0, v3 dst_sel:DWORD dst_unused:UNUSED_PAD src0_sel:DWORD src1_sel:WORD_1
	v_fmac_f16_e32 v93, v2, v49
	v_fma_f16 v100, v0, v3, -v100
	v_fmac_f16_e32 v107, v50, v3
	ds_read2_b32 v[0:1], v74 offset0:16 offset1:124
	s_waitcnt vmcnt(7)
	v_mul_f16_sdwa v46, v105, v5 dst_sel:DWORD dst_unused:UNUSED_PAD src0_sel:DWORD src1_sel:WORD_1
	v_mul_f16_sdwa v2, v47, v5 dst_sel:DWORD dst_unused:UNUSED_PAD src0_sel:DWORD src1_sel:WORD_1
	;; [unrolled: 1-line block ×3, first 2 shown]
	s_waitcnt lgkmcnt(5)
	v_lshrrev_b32_e32 v109, 16, v55
	v_fmac_f16_e32 v46, v47, v5
	v_fma_f16 v49, v105, v5, -v2
	v_lshrrev_b32_e32 v5, 16, v52
	v_mul_f16_sdwa v50, v52, v4 dst_sel:DWORD dst_unused:UNUSED_PAD src0_sel:DWORD src1_sel:WORD_1
	v_fmac_f16_e32 v108, v51, v7
	v_mul_f16_sdwa v47, v51, v7 dst_sel:DWORD dst_unused:UNUSED_PAD src0_sel:DWORD src1_sel:WORD_1
	v_lshrrev_b32_e32 v51, 16, v54
	v_mul_f16_sdwa v105, v5, v4 dst_sel:DWORD dst_unused:UNUSED_PAD src0_sel:DWORD src1_sel:WORD_1
	v_fma_f16 v50, v5, v4, -v50
	v_lshrrev_b32_e32 v5, 16, v53
	v_fma_f16 v47, v106, v7, -v47
	v_mul_f16_sdwa v7, v54, v6 dst_sel:DWORD dst_unused:UNUSED_PAD src0_sel:DWORD src1_sel:WORD_1
	v_mul_f16_sdwa v106, v51, v6 dst_sel:DWORD dst_unused:UNUSED_PAD src0_sel:DWORD src1_sel:WORD_1
	v_fmac_f16_e32 v105, v52, v4
	s_waitcnt vmcnt(6)
	v_mul_f16_sdwa v52, v5, v8 dst_sel:DWORD dst_unused:UNUSED_PAD src0_sel:DWORD src1_sel:WORD_1
	v_mul_f16_sdwa v4, v53, v8 dst_sel:DWORD dst_unused:UNUSED_PAD src0_sel:DWORD src1_sel:WORD_1
	ds_read2_b32 v[2:3], v73 offset0:72 offset1:180
	v_fma_f16 v51, v51, v6, -v7
	v_fmac_f16_e32 v106, v54, v6
	v_fmac_f16_e32 v52, v53, v8
	v_fma_f16 v8, v5, v8, -v4
	ds_read2_b32 v[4:5], v80 offset0:96 offset1:204
	ds_read2_b32 v[6:7], v79 offset0:24 offset1:132
	global_load_dword v56, v56, s[8:9] offset:364
	v_mul_f16_sdwa v54, v109, v10 dst_sel:DWORD dst_unused:UNUSED_PAD src0_sel:DWORD src1_sel:WORD_1
	v_mul_f16_sdwa v110, v55, v10 dst_sel:DWORD dst_unused:UNUSED_PAD src0_sel:DWORD src1_sel:WORD_1
	s_waitcnt lgkmcnt(3)
	v_lshrrev_b32_e32 v111, 16, v0
	v_mul_f16_sdwa v112, v0, v9 dst_sel:DWORD dst_unused:UNUSED_PAD src0_sel:DWORD src1_sel:WORD_1
	v_fmac_f16_e32 v54, v55, v10
	v_fma_f16 v10, v109, v10, -v110
	v_mul_f16_sdwa v110, v111, v9 dst_sel:DWORD dst_unused:UNUSED_PAD src0_sel:DWORD src1_sel:WORD_1
	v_fma_f16 v109, v111, v9, -v112
	v_lshrrev_b32_e32 v111, 16, v1
	v_fmac_f16_e32 v110, v0, v9
	s_waitcnt lgkmcnt(2)
	v_lshrrev_b32_e32 v53, 16, v2
	v_mul_f16_sdwa v55, v2, v11 dst_sel:DWORD dst_unused:UNUSED_PAD src0_sel:DWORD src1_sel:WORD_1
	s_waitcnt vmcnt(6)
	v_mul_f16_sdwa v9, v111, v17 dst_sel:DWORD dst_unused:UNUSED_PAD src0_sel:DWORD src1_sel:WORD_1
	v_mul_f16_sdwa v0, v1, v17 dst_sel:DWORD dst_unused:UNUSED_PAD src0_sel:DWORD src1_sel:WORD_1
	v_lshrrev_b32_e32 v112, 16, v3
	v_mul_f16_sdwa v114, v3, v19 dst_sel:DWORD dst_unused:UNUSED_PAD src0_sel:DWORD src1_sel:WORD_1
	v_fma_f16 v55, v53, v11, -v55
	v_mul_f16_sdwa v53, v53, v11 dst_sel:DWORD dst_unused:UNUSED_PAD src0_sel:DWORD src1_sel:WORD_1
	v_fmac_f16_e32 v9, v1, v17
	v_mul_f16_sdwa v113, v112, v19 dst_sel:DWORD dst_unused:UNUSED_PAD src0_sel:DWORD src1_sel:WORD_1
	s_waitcnt lgkmcnt(1)
	v_lshrrev_b32_e32 v115, 16, v5
	v_fmac_f16_e32 v53, v2, v11
	v_fma_f16 v11, v111, v17, -v0
	ds_read2_b32 v[0:1], v71 offset0:32 offset1:140
	v_fmac_f16_e32 v113, v3, v19
	v_fma_f16 v17, v112, v19, -v114
	v_lshrrev_b32_e32 v2, 16, v4
	s_waitcnt lgkmcnt(1)
	v_lshrrev_b32_e32 v3, 16, v6
	v_mul_f16_sdwa v19, v4, v16 dst_sel:DWORD dst_unused:UNUSED_PAD src0_sel:DWORD src1_sel:WORD_1
	v_mul_f16_sdwa v111, v6, v18 dst_sel:DWORD dst_unused:UNUSED_PAD src0_sel:DWORD src1_sel:WORD_1
	s_waitcnt vmcnt(5)
	v_mul_f16_sdwa v116, v115, v12 dst_sel:DWORD dst_unused:UNUSED_PAD src0_sel:DWORD src1_sel:WORD_1
	v_mul_f16_sdwa v112, v2, v16 dst_sel:DWORD dst_unused:UNUSED_PAD src0_sel:DWORD src1_sel:WORD_1
	;; [unrolled: 1-line block ×3, first 2 shown]
	v_fma_f16 v19, v2, v16, -v19
	v_lshrrev_b32_e32 v2, 16, v48
	v_fma_f16 v111, v3, v18, -v111
	v_fmac_f16_e32 v112, v4, v16
	v_fmac_f16_e32 v114, v6, v18
	v_mul_f16_sdwa v16, v48, v13 dst_sel:DWORD dst_unused:UNUSED_PAD src0_sel:DWORD src1_sel:WORD_1
	v_mul_f16_sdwa v4, v2, v13 dst_sel:DWORD dst_unused:UNUSED_PAD src0_sel:DWORD src1_sel:WORD_1
	v_fmac_f16_e32 v116, v5, v12
	v_mul_f16_sdwa v5, v5, v12 dst_sel:DWORD dst_unused:UNUSED_PAD src0_sel:DWORD src1_sel:WORD_1
	v_lshrrev_b32_e32 v3, 16, v7
	s_waitcnt lgkmcnt(0)
	v_lshrrev_b32_e32 v18, 16, v1
	v_fmac_f16_e32 v4, v48, v13
	v_fma_f16 v13, v2, v13, -v16
	s_waitcnt vmcnt(4)
	v_mul_f16_sdwa v16, v1, v57 dst_sel:DWORD dst_unused:UNUSED_PAD src0_sel:DWORD src1_sel:WORD_1
	v_lshrrev_b32_e32 v48, 16, v104
	v_mul_f16_sdwa v2, v18, v57 dst_sel:DWORD dst_unused:UNUSED_PAD src0_sel:DWORD src1_sel:WORD_1
	v_fma_f16 v5, v115, v12, -v5
	v_add_f16_e32 v115, v96, v100
	v_fma_f16 v16, v18, v57, -v16
	v_add_f16_e32 v18, v104, v99
	v_fmac_f16_e32 v2, v1, v57
	v_add_f16_e32 v1, v99, v107
	v_sub_f16_e32 v57, v96, v100
	v_sub_f16_e32 v99, v99, v107
	v_add_f16_e32 v18, v18, v107
	v_add_f16_e32 v107, v98, v97
	v_fmac_f16_e32 v104, -0.5, v1
	v_add_f16_e32 v1, v48, v96
	v_add_f16_e32 v96, v97, v16
	v_fmac_f16_e32 v48, -0.5, v115
	v_add_f16_e32 v115, v93, v2
	v_sub_f16_e32 v97, v97, v16
	v_mul_f16_sdwa v6, v3, v14 dst_sel:DWORD dst_unused:UNUSED_PAD src0_sel:DWORD src1_sel:WORD_1
	v_fmac_f16_e32 v98, -0.5, v96
	v_sub_f16_e32 v96, v93, v2
	v_add_f16_e32 v93, v95, v93
	v_fmac_f16_e32 v95, -0.5, v115
	v_fmac_f16_e32 v6, v7, v14
	v_mul_f16_sdwa v7, v7, v14 dst_sel:DWORD dst_unused:UNUSED_PAD src0_sel:DWORD src1_sel:WORD_1
	v_fmamk_f16 v115, v96, 0x3aee, v98
	v_fmac_f16_e32 v98, 0xbaee, v96
	v_fmamk_f16 v96, v97, 0xbaee, v95
	v_fmac_f16_e32 v95, 0x3aee, v97
	v_lshrrev_b32_e32 v12, 16, v0
	v_fmamk_f16 v117, v57, 0xbaee, v104
	v_mul_f16_e32 v97, 0xbaee, v98
	v_mul_f16_e32 v98, -0.5, v98
	v_fmac_f16_e32 v104, 0x3aee, v57
	v_add_f16_e32 v57, v1, v100
	v_fmamk_f16 v100, v99, 0x3aee, v48
	v_fmac_f16_e32 v48, 0xbaee, v99
	v_add_f16_e32 v93, v93, v2
	v_fmac_f16_e32 v97, -0.5, v95
	v_fmac_f16_e32 v98, 0x3aee, v95
	v_add_f16_e32 v16, v107, v16
	v_fma_f16 v7, v3, v14, -v7
	v_mul_f16_sdwa v3, v0, v15 dst_sel:DWORD dst_unused:UNUSED_PAD src0_sel:DWORD src1_sel:WORD_1
	v_mul_f16_sdwa v14, v12, v15 dst_sel:DWORD dst_unused:UNUSED_PAD src0_sel:DWORD src1_sel:WORD_1
	v_lshlrev_b32_e32 v1, 2, v44
	v_cndmask_b32_e64 v2, 0, 0x870, s0
	v_add_f16_e32 v44, v104, v97
	v_add_f16_e32 v95, v48, v98
	v_sub_f16_e32 v99, v18, v93
	v_sub_f16_e32 v107, v57, v16
	v_fma_f16 v12, v12, v15, -v3
	v_fmac_f16_e32 v14, v0, v15
	v_add3_u32 v15, 0, v2, v1
	ds_read2_b32 v[0:1], v70 offset0:120 offset1:228
	ds_read2_b32 v[2:3], v77 offset0:80 offset1:188
	v_pack_b32_f16 v44, v44, v95
	v_pack_b32_f16 v95, v99, v107
	v_mul_f16_e32 v99, 0xbaee, v115
	v_mul_f16_e32 v107, 0.5, v115
	v_add_f16_e32 v18, v18, v93
	v_add_f16_e32 v16, v57, v16
	v_sub_f16_e32 v97, v104, v97
	v_fmac_f16_e32 v99, 0.5, v96
	v_fmac_f16_e32 v107, 0x3aee, v96
	v_add_nc_u32_e32 v96, 0x200, v15
	v_pack_b32_f16 v16, v18, v16
	v_sub_f16_e32 v48, v48, v98
	v_add_f16_e32 v57, v117, v99
	v_add_f16_e32 v93, v100, v107
	v_sub_f16_e32 v99, v117, v99
	v_sub_f16_e32 v100, v100, v107
	s_waitcnt vmcnt(0) lgkmcnt(0)
	s_barrier
	v_pack_b32_f16 v18, v57, v93
	v_lshrrev_b32_e32 v93, 16, v0
	buffer_gl0_inv
	v_mul_f16_sdwa v98, v0, v58 dst_sel:DWORD dst_unused:UNUSED_PAD src0_sel:DWORD src1_sel:WORD_1
	ds_write2_b32 v96, v44, v95 offset0:52 offset1:142
	v_pack_b32_f16 v57, v99, v100
	v_mul_f16_sdwa v44, v93, v58 dst_sel:DWORD dst_unused:UNUSED_PAD src0_sel:DWORD src1_sel:WORD_1
	v_pack_b32_f16 v48, v97, v48
	v_add_nc_u32_e32 v97, 0x400, v15
	ds_write2_b32 v15, v16, v18 offset1:90
	ds_write2_b32 v97, v57, v48 offset0:104 offset1:194
	v_fma_f16 v15, v93, v58, -v98
	v_add_f16_e32 v16, v46, v108
	v_fmac_f16_e32 v44, v0, v58
	v_lshrrev_b32_e32 v0, 16, v101
	v_add_f16_e32 v18, v49, v47
	v_add_f16_e32 v48, v101, v46
	v_fmac_f16_e32 v101, -0.5, v16
	v_sub_f16_e32 v16, v49, v47
	v_add_f16_e32 v49, v0, v49
	v_add_f16_e32 v57, v51, v15
	v_fmac_f16_e32 v0, -0.5, v18
	v_add_f16_e32 v18, v48, v108
	v_sub_f16_e32 v46, v46, v108
	v_fmamk_f16 v48, v16, 0xbaee, v101
	v_fmac_f16_e32 v101, 0x3aee, v16
	v_add_f16_e32 v16, v49, v47
	v_add_f16_e32 v47, v50, v51
	v_add_f16_e32 v49, v106, v44
	v_fmac_f16_e32 v50, -0.5, v57
	v_sub_f16_e32 v57, v106, v44
	v_fmamk_f16 v58, v46, 0x3aee, v0
	v_add_f16_e32 v93, v105, v106
	v_fmac_f16_e32 v105, -0.5, v49
	v_sub_f16_e32 v49, v51, v15
	v_fmamk_f16 v51, v57, 0x3aee, v50
	v_fmac_f16_e32 v50, 0xbaee, v57
	v_fmac_f16_e32 v0, 0xbaee, v46
	v_mov_b32_e32 v46, 0x870
	v_fmamk_f16 v57, v49, 0xbaee, v105
	v_fmac_f16_e32 v105, 0x3aee, v49
	v_mul_f16_e32 v49, 0xbaee, v50
	v_mul_f16_e32 v50, -0.5, v50
	v_mul_u32_u24_sdwa v42, v42, v46 dst_sel:DWORD dst_unused:UNUSED_PAD src0_sel:WORD_0 src1_sel:DWORD
	v_add_f16_e32 v44, v93, v44
	v_add_f16_e32 v15, v47, v15
	v_fmac_f16_e32 v49, -0.5, v105
	v_fmac_f16_e32 v50, 0x3aee, v105
	v_add3_u32 v42, 0, v42, v43
	v_mul_f16_e32 v43, 0xbaee, v51
	v_mul_f16_e32 v46, 0.5, v51
	v_add_f16_e32 v47, v101, v49
	v_add_f16_e32 v51, v0, v50
	v_sub_f16_e32 v93, v18, v44
	v_fmac_f16_e32 v43, 0.5, v57
	v_fmac_f16_e32 v46, 0x3aee, v57
	v_sub_f16_e32 v57, v16, v15
	v_add_f16_e32 v18, v18, v44
	v_add_f16_e32 v15, v16, v15
	;; [unrolled: 1-line block ×3, first 2 shown]
	v_pack_b32_f16 v47, v47, v51
	v_pack_b32_f16 v51, v93, v57
	v_add_nc_u32_e32 v57, 0x200, v42
	v_pack_b32_f16 v15, v18, v15
	v_sub_f16_e32 v18, v48, v43
	v_lshrrev_b32_e32 v43, 16, v1
	v_add_f16_e32 v44, v58, v46
	ds_write2_b32 v57, v47, v51 offset0:52 offset1:142
	v_sub_f16_e32 v46, v58, v46
	v_sub_f16_e32 v0, v0, v50
	v_mul_f16_sdwa v47, v43, v92 dst_sel:DWORD dst_unused:UNUSED_PAD src0_sel:DWORD src1_sel:WORD_1
	v_pack_b32_f16 v16, v16, v44
	v_sub_f16_e32 v44, v101, v49
	v_add_f16_e32 v49, v8, v10
	v_sub_f16_e32 v48, v109, v55
	v_fmac_f16_e32 v47, v1, v92
	v_mul_f16_sdwa v1, v1, v92 dst_sel:DWORD dst_unused:UNUSED_PAD src0_sel:DWORD src1_sel:WORD_1
	ds_write2_b32 v42, v15, v16 offset1:90
	v_pack_b32_f16 v15, v18, v46
	v_pack_b32_f16 v0, v44, v0
	v_add_nc_u32_e32 v16, 0x400, v42
	v_add_f16_e32 v18, v110, v53
	v_lshrrev_b32_e32 v42, 16, v102
	v_add_f16_e32 v44, v109, v55
	v_fma_f16 v1, v43, v92, -v1
	v_add_f16_e32 v46, v102, v110
	v_fmac_f16_e32 v102, -0.5, v18
	v_add_f16_e32 v18, v42, v109
	v_fmac_f16_e32 v42, -0.5, v44
	v_add_f16_e32 v44, v10, v1
	v_add_f16_e32 v50, v54, v47
	;; [unrolled: 1-line block ×3, first 2 shown]
	v_sub_f16_e32 v46, v110, v53
	v_add_f16_e32 v53, v52, v54
	v_fmac_f16_e32 v8, -0.5, v44
	v_sub_f16_e32 v44, v54, v47
	v_fmac_f16_e32 v52, -0.5, v50
	v_sub_f16_e32 v10, v10, v1
	v_fmamk_f16 v51, v48, 0xbaee, v102
	v_fmac_f16_e32 v102, 0x3aee, v48
	v_fmamk_f16 v50, v44, 0x3aee, v8
	v_fmac_f16_e32 v8, 0xbaee, v44
	v_fmamk_f16 v44, v10, 0xbaee, v52
	v_fmac_f16_e32 v52, 0x3aee, v10
	v_fmamk_f16 v48, v46, 0x3aee, v42
	v_fmac_f16_e32 v42, 0xbaee, v46
	v_mul_f16_e32 v10, 0xbaee, v8
	v_mul_f16_e32 v8, -0.5, v8
	v_add_f16_e32 v46, v53, v47
	v_mul_f16_e32 v53, 0xbaee, v50
	v_mul_f16_e32 v50, 0.5, v50
	v_fmac_f16_e32 v10, -0.5, v52
	v_fmac_f16_e32 v8, 0x3aee, v52
	v_add_f16_e32 v18, v18, v55
	v_add_f16_e32 v1, v49, v1
	v_fmac_f16_e32 v53, 0.5, v44
	v_add_f16_e32 v47, v102, v10
	v_add_f16_e32 v49, v42, v8
	v_fmac_f16_e32 v50, 0x3aee, v44
	v_sub_f16_e32 v52, v43, v46
	v_sub_f16_e32 v54, v18, v1
	v_add_f16_e32 v43, v43, v46
	v_pack_b32_f16 v41, v47, v49
	v_add_f16_e32 v1, v18, v1
	v_add_f16_e32 v18, v51, v53
	;; [unrolled: 1-line block ×3, first 2 shown]
	v_sub_f16_e32 v47, v51, v53
	v_sub_f16_e32 v48, v48, v50
	;; [unrolled: 1-line block ×4, first 2 shown]
	v_pack_b32_f16 v1, v43, v1
	v_pack_b32_f16 v18, v18, v46
	;; [unrolled: 1-line block ×3, first 2 shown]
	v_lshrrev_b32_e32 v46, 16, v2
	v_mul_f16_sdwa v47, v2, v94 dst_sel:DWORD dst_unused:UNUSED_PAD src0_sel:DWORD src1_sel:WORD_1
	v_pack_b32_f16 v44, v52, v54
	v_add_nc_u32_e32 v42, 0x200, v40
	v_pack_b32_f16 v8, v10, v8
	v_add_nc_u32_e32 v10, 0x400, v40
	ds_write2_b32 v16, v15, v0 offset0:104 offset1:194
	ds_write2_b32 v42, v41, v44 offset0:52 offset1:142
	ds_write2_b32 v40, v1, v18 offset1:90
	ds_write2_b32 v10, v43, v8 offset0:104 offset1:194
	v_fma_f16 v0, v46, v94, -v47
	v_mul_f16_sdwa v1, v46, v94 dst_sel:DWORD dst_unused:UNUSED_PAD src0_sel:DWORD src1_sel:WORD_1
	v_lshrrev_b32_e32 v10, 16, v103
	v_add_f16_e32 v15, v11, v17
	v_add_f16_e32 v8, v9, v113
	;; [unrolled: 1-line block ×3, first 2 shown]
	v_fmac_f16_e32 v1, v2, v94
	v_add_f16_e32 v2, v10, v11
	v_fmac_f16_e32 v10, -0.5, v15
	v_add_f16_e32 v15, v111, v0
	v_fmac_f16_e32 v103, -0.5, v8
	v_add_f16_e32 v8, v16, v113
	v_add_f16_e32 v16, v19, v111
	;; [unrolled: 1-line block ×3, first 2 shown]
	v_fmac_f16_e32 v19, -0.5, v15
	v_sub_f16_e32 v15, v114, v1
	v_sub_f16_e32 v11, v11, v17
	v_add_f16_e32 v41, v112, v114
	v_fmac_f16_e32 v112, -0.5, v18
	v_sub_f16_e32 v18, v111, v0
	v_fmamk_f16 v42, v15, 0x3aee, v19
	v_fmac_f16_e32 v19, 0xbaee, v15
	v_sub_f16_e32 v9, v9, v113
	v_fmamk_f16 v40, v11, 0xbaee, v103
	v_fmac_f16_e32 v103, 0x3aee, v11
	v_add_f16_e32 v2, v2, v17
	v_fmamk_f16 v11, v18, 0xbaee, v112
	v_fmac_f16_e32 v112, 0x3aee, v18
	v_mul_f16_e32 v15, 0xbaee, v19
	v_mul_f16_e32 v17, -0.5, v19
	v_mul_f16_e32 v43, 0xbaee, v42
	v_mul_f16_e32 v42, 0.5, v42
	v_fmamk_f16 v18, v9, 0x3aee, v10
	v_fmac_f16_e32 v10, 0xbaee, v9
	v_add_f16_e32 v1, v41, v1
	v_fmac_f16_e32 v15, -0.5, v112
	v_fmac_f16_e32 v17, 0x3aee, v112
	v_add_f16_e32 v0, v16, v0
	v_mul_u32_u24_e32 v9, 0x870, v21
	v_lshlrev_b32_sdwa v16, v91, v22 dst_sel:DWORD dst_unused:UNUSED_PAD src0_sel:DWORD src1_sel:WORD_0
	v_fmac_f16_e32 v43, 0.5, v11
	v_fmac_f16_e32 v42, 0x3aee, v11
	v_add_f16_e32 v19, v103, v15
	v_add_f16_e32 v21, v10, v17
	v_sub_f16_e32 v22, v8, v1
	v_sub_f16_e32 v41, v2, v0
	v_add3_u32 v9, 0, v9, v16
	v_add_f16_e32 v1, v8, v1
	v_add_f16_e32 v0, v2, v0
	;; [unrolled: 1-line block ×4, first 2 shown]
	v_pack_b32_f16 v16, v19, v21
	v_pack_b32_f16 v19, v22, v41
	v_add_nc_u32_e32 v11, 0x200, v9
	v_sub_f16_e32 v21, v40, v43
	v_sub_f16_e32 v15, v103, v15
	v_sub_f16_e32 v18, v18, v42
	v_sub_f16_e32 v10, v10, v17
	v_pack_b32_f16 v0, v1, v0
	v_lshrrev_b32_e32 v1, 16, v3
	v_pack_b32_f16 v2, v2, v8
	v_pack_b32_f16 v8, v21, v18
	;; [unrolled: 1-line block ×3, first 2 shown]
	v_add_nc_u32_e32 v15, 0x400, v9
	v_mul_f16_sdwa v17, v1, v56 dst_sel:DWORD dst_unused:UNUSED_PAD src0_sel:DWORD src1_sel:WORD_1
	ds_write2_b32 v11, v16, v19 offset0:52 offset1:142
	ds_write2_b32 v9, v0, v2 offset1:90
	v_mul_f16_sdwa v0, v3, v56 dst_sel:DWORD dst_unused:UNUSED_PAD src0_sel:DWORD src1_sel:WORD_1
	v_add_f16_e32 v2, v4, v14
	ds_write2_b32 v15, v8, v10 offset0:104 offset1:194
	v_fmac_f16_e32 v17, v3, v56
	v_lshrrev_b32_e32 v3, 16, v45
	v_fma_f16 v0, v1, v56, -v0
	v_add_f16_e32 v1, v13, v12
	v_add_f16_e32 v8, v45, v4
	v_fmac_f16_e32 v45, -0.5, v2
	v_add_f16_e32 v2, v3, v13
	v_sub_f16_e32 v9, v13, v12
	v_fmac_f16_e32 v3, -0.5, v1
	v_add_f16_e32 v1, v8, v14
	v_add_f16_e32 v8, v7, v0
	;; [unrolled: 1-line block ×3, first 2 shown]
	v_fmamk_f16 v10, v9, 0xbaee, v45
	v_fmac_f16_e32 v45, 0x3aee, v9
	v_add_f16_e32 v9, v5, v7
	v_fmac_f16_e32 v5, -0.5, v8
	v_sub_f16_e32 v8, v6, v17
	v_sub_f16_e32 v4, v4, v14
	v_add_f16_e32 v2, v2, v12
	v_add_f16_e32 v6, v116, v6
	v_fmac_f16_e32 v116, -0.5, v11
	v_sub_f16_e32 v7, v7, v0
	v_fmamk_f16 v11, v8, 0x3aee, v5
	v_fmac_f16_e32 v5, 0xbaee, v8
	v_lshlrev_b32_sdwa v12, v91, v39 dst_sel:DWORD dst_unused:UNUSED_PAD src0_sel:DWORD src1_sel:WORD_0
	v_mul_u32_u24_e32 v13, 0x870, v23
	v_fmamk_f16 v8, v4, 0x3aee, v3
	v_fmac_f16_e32 v3, 0xbaee, v4
	v_fmamk_f16 v4, v7, 0xbaee, v116
	v_fmac_f16_e32 v116, 0x3aee, v7
	v_mul_f16_e32 v7, 0xbaee, v5
	v_mul_f16_e32 v5, -0.5, v5
	v_add_f16_e32 v0, v9, v0
	v_add3_u32 v9, 0, v13, v12
	v_mul_f16_e32 v12, 0xbaee, v11
	v_mul_f16_e32 v11, 0.5, v11
	v_add_f16_e32 v6, v6, v17
	v_fmac_f16_e32 v7, -0.5, v116
	v_fmac_f16_e32 v5, 0x3aee, v116
	v_fmac_f16_e32 v12, 0.5, v4
	v_fmac_f16_e32 v11, 0x3aee, v4
	v_sub_f16_e32 v15, v1, v6
	v_add_f16_e32 v13, v45, v7
	v_add_f16_e32 v14, v3, v5
	v_sub_f16_e32 v4, v2, v0
	v_add_f16_e32 v1, v1, v6
	v_add_f16_e32 v0, v2, v0
	;; [unrolled: 1-line block ×4, first 2 shown]
	v_pack_b32_f16 v13, v13, v14
	v_pack_b32_f16 v4, v15, v4
	v_add_nc_u32_e32 v14, 0x200, v9
	v_pack_b32_f16 v0, v1, v0
	v_pack_b32_f16 v1, v2, v6
	v_sub_f16_e32 v6, v45, v7
	v_mul_u32_u24_e32 v7, 5, v24
	ds_write2_b32 v14, v13, v4 offset0:52 offset1:142
	ds_write2_b32 v9, v0, v1 offset1:90
	v_sub_f16_e32 v2, v10, v12
	v_sub_f16_e32 v8, v8, v11
	v_lshlrev_b32_e32 v0, 2, v7
	v_sub_f16_e32 v3, v3, v5
	v_mul_i32_i24_e32 v19, 5, v26
	v_pack_b32_f16 v1, v2, v8
	v_add_co_u32 v0, s0, s8, v0
	v_add_co_ci_u32_e64 v4, null, s9, 0, s0
	v_pack_b32_f16 v2, v6, v3
	v_add_co_u32 v14, s0, 0x800, v0
	v_add_nc_u32_e32 v3, 0x400, v9
	v_add_co_ci_u32_e64 v15, s0, 0, v4, s0
	v_lshlrev_b64 v[5:6], 2, v[19:20]
	v_mul_i32_i24_e32 v19, 5, v38
	ds_write2_b32 v3, v1, v2 offset0:104 offset1:194
	s_waitcnt lgkmcnt(0)
	s_barrier
	buffer_gl0_inv
	global_load_dwordx4 v[1:4], v[14:15], off offset:100
	v_add_co_u32 v0, s0, s8, v5
	v_add_co_ci_u32_e64 v5, s0, s9, v6, s0
	v_lshlrev_b64 v[9:10], 2, v[19:20]
	v_add_co_u32 v16, s0, 0x800, v0
	v_add_co_ci_u32_e64 v17, s0, 0, v5, s0
	v_mul_i32_i24_e32 v19, 5, v37
	v_add_co_u32 v0, s0, s8, v9
	global_load_dwordx4 v[5:8], v[16:17], off offset:100
	v_add_co_ci_u32_e64 v9, s0, s9, v10, s0
	v_add_co_u32 v21, s0, 0x800, v0
	v_lshlrev_b64 v[18:19], 2, v[19:20]
	v_add_co_ci_u32_e64 v22, s0, 0, v9, s0
	global_load_dwordx4 v[10:13], v[21:22], off offset:100
	v_add_co_u32 v0, s0, s8, v18
	v_add_co_ci_u32_e64 v9, s0, s9, v19, s0
	v_mul_i32_i24_e32 v19, 5, v36
	v_add_co_u32 v47, s0, 0x800, v0
	v_add_co_ci_u32_e64 v48, s0, 0, v9, s0
	v_lshlrev_b64 v[18:19], 2, v[19:20]
	global_load_dwordx4 v[39:42], v[47:48], off offset:100
	v_add_co_u32 v0, s0, s8, v18
	v_add_co_ci_u32_e64 v9, s0, s9, v19, s0
	v_add_co_u32 v18, s0, 0x800, v0
	v_add_co_ci_u32_e64 v19, s0, 0, v9, s0
	s_clause 0x5
	global_load_dwordx4 v[43:46], v[18:19], off offset:100
	global_load_dword v23, v[14:15], off offset:116
	global_load_dword v51, v[16:17], off offset:116
	global_load_dword v52, v[21:22], off offset:116
	global_load_dword v53, v[47:48], off offset:116
	global_load_dword v19, v[18:19], off offset:116
	ds_read_b32 v9, v90
	ds_read2_b32 v[14:15], v78 offset0:56 offset1:164
	ds_read2_b32 v[17:18], v76 offset0:104 offset1:212
	;; [unrolled: 1-line block ×3, first 2 shown]
	ds_read_b32 v0, v87
	s_waitcnt lgkmcnt(4)
	v_lshrrev_b32_e32 v16, 16, v9
	s_waitcnt vmcnt(9)
	v_mul_f16_sdwa v47, v1, v9 dst_sel:DWORD dst_unused:UNUSED_PAD src0_sel:WORD_1 src1_sel:DWORD
	v_mul_f16_sdwa v54, v1, v16 dst_sel:DWORD dst_unused:UNUSED_PAD src0_sel:WORD_1 src1_sel:DWORD
	s_waitcnt lgkmcnt(3)
	v_mul_f16_sdwa v49, v2, v14 dst_sel:DWORD dst_unused:UNUSED_PAD src0_sel:WORD_1 src1_sel:DWORD
	s_waitcnt lgkmcnt(1)
	v_mul_f16_sdwa v58, v21, v4 dst_sel:DWORD dst_unused:UNUSED_PAD src0_sel:DWORD src1_sel:WORD_1
	v_fma_f16 v55, v1, v16, -v47
	ds_read2_b32 v[47:48], v75 offset0:136 offset1:244
	v_fmac_f16_e32 v54, v1, v9
	v_lshrrev_b32_e32 v9, 16, v14
	v_lshrrev_b32_e32 v1, 16, v18
	v_mul_f16_sdwa v16, v3, v18 dst_sel:DWORD dst_unused:UNUSED_PAD src0_sel:WORD_1 src1_sel:DWORD
	v_fma_f16 v56, v2, v9, -v49
	v_mul_f16_sdwa v57, v2, v9 dst_sel:DWORD dst_unused:UNUSED_PAD src0_sel:WORD_1 src1_sel:DWORD
	v_lshrrev_b32_e32 v9, 16, v21
	v_fma_f16 v75, v3, v1, -v16
	v_lshrrev_b32_e32 v16, 16, v15
	ds_read2_b32 v[49:50], v72 offset0:64 offset1:172
	v_mul_f16_sdwa v72, v3, v1 dst_sel:DWORD dst_unused:UNUSED_PAD src0_sel:WORD_1 src1_sel:DWORD
	s_waitcnt vmcnt(8)
	v_mul_f16_sdwa v1, v15, v6 dst_sel:DWORD dst_unused:UNUSED_PAD src0_sel:DWORD src1_sel:WORD_1
	v_mul_f16_sdwa v76, v9, v4 dst_sel:DWORD dst_unused:UNUSED_PAD src0_sel:DWORD src1_sel:WORD_1
	v_fmac_f16_e32 v57, v2, v14
	v_fma_f16 v58, v9, v4, -v58
	v_lshrrev_b32_e32 v9, 16, v22
	v_fma_f16 v90, v16, v6, -v1
	ds_read2_b32 v[1:2], v74 offset0:16 offset1:124
	v_fmac_f16_e32 v72, v3, v18
	v_fmac_f16_e32 v76, v21, v4
	v_mul_f16_sdwa v3, v22, v8 dst_sel:DWORD dst_unused:UNUSED_PAD src0_sel:DWORD src1_sel:WORD_1
	s_waitcnt lgkmcnt(2)
	v_lshrrev_b32_e32 v14, 16, v47
	v_mul_f16_sdwa v4, v47, v5 dst_sel:DWORD dst_unused:UNUSED_PAD src0_sel:DWORD src1_sel:WORD_1
	v_mul_f16_sdwa v78, v16, v6 dst_sel:DWORD dst_unused:UNUSED_PAD src0_sel:DWORD src1_sel:WORD_1
	;; [unrolled: 1-line block ×3, first 2 shown]
	v_fma_f16 v74, v9, v8, -v3
	v_lshrrev_b32_e32 v9, 16, v48
	v_fma_f16 v91, v14, v5, -v4
	ds_read2_b32 v[3:4], v73 offset0:72 offset1:180
	v_mul_f16_sdwa v73, v14, v5 dst_sel:DWORD dst_unused:UNUSED_PAD src0_sel:DWORD src1_sel:WORD_1
	v_fmac_f16_e32 v78, v15, v6
	v_fmac_f16_e32 v81, v22, v8
	s_waitcnt lgkmcnt(2)
	v_lshrrev_b32_e32 v6, 16, v49
	ds_read2_b32 v[21:22], v80 offset0:96 offset1:204
	v_fmac_f16_e32 v73, v47, v5
	s_waitcnt vmcnt(7)
	v_mul_f16_sdwa v5, v48, v10 dst_sel:DWORD dst_unused:UNUSED_PAD src0_sel:DWORD src1_sel:WORD_1
	v_mul_f16_sdwa v8, v49, v7 dst_sel:DWORD dst_unused:UNUSED_PAD src0_sel:DWORD src1_sel:WORD_1
	;; [unrolled: 1-line block ×4, first 2 shown]
	v_lshrrev_b32_e32 v15, 16, v50
	v_fma_f16 v96, v9, v10, -v5
	s_waitcnt lgkmcnt(2)
	v_lshrrev_b32_e32 v5, 16, v1
	v_fma_f16 v92, v6, v7, -v8
	v_fmac_f16_e32 v93, v49, v7
	v_fmac_f16_e32 v94, v48, v10
	v_mul_f16_sdwa v6, v50, v12 dst_sel:DWORD dst_unused:UNUSED_PAD src0_sel:DWORD src1_sel:WORD_1
	v_mul_f16_sdwa v7, v1, v11 dst_sel:DWORD dst_unused:UNUSED_PAD src0_sel:DWORD src1_sel:WORD_1
	ds_read2_b32 v[47:48], v79 offset0:24 offset1:132
	v_mul_f16_sdwa v97, v5, v11 dst_sel:DWORD dst_unused:UNUSED_PAD src0_sel:DWORD src1_sel:WORD_1
	v_mul_f16_sdwa v95, v15, v12 dst_sel:DWORD dst_unused:UNUSED_PAD src0_sel:DWORD src1_sel:WORD_1
	v_fma_f16 v80, v15, v12, -v6
	s_waitcnt lgkmcnt(2)
	v_lshrrev_b32_e32 v6, 16, v3
	v_fma_f16 v79, v5, v11, -v7
	v_lshrrev_b32_e32 v7, 16, v2
	v_fmac_f16_e32 v97, v1, v11
	s_waitcnt vmcnt(6)
	v_mul_f16_sdwa v1, v2, v40 dst_sel:DWORD dst_unused:UNUSED_PAD src0_sel:DWORD src1_sel:WORD_1
	v_fmac_f16_e32 v95, v50, v12
	v_mul_f16_sdwa v8, v3, v13 dst_sel:DWORD dst_unused:UNUSED_PAD src0_sel:DWORD src1_sel:WORD_1
	v_lshrrev_b32_e32 v12, 16, v4
	v_mul_f16_sdwa v99, v6, v13 dst_sel:DWORD dst_unused:UNUSED_PAD src0_sel:DWORD src1_sel:WORD_1
	v_fma_f16 v15, v7, v40, -v1
	s_waitcnt lgkmcnt(1)
	v_lshrrev_b32_e32 v1, 16, v21
	v_fma_f16 v98, v6, v13, -v8
	v_mul_f16_sdwa v9, v7, v40 dst_sel:DWORD dst_unused:UNUSED_PAD src0_sel:DWORD src1_sel:WORD_1
	v_mul_f16_sdwa v10, v12, v42 dst_sel:DWORD dst_unused:UNUSED_PAD src0_sel:DWORD src1_sel:WORD_1
	v_fmac_f16_e32 v99, v3, v13
	v_mul_f16_sdwa v3, v21, v39 dst_sel:DWORD dst_unused:UNUSED_PAD src0_sel:DWORD src1_sel:WORD_1
	ds_read2_b32 v[49:50], v71 offset0:32 offset1:140
	v_mul_f16_sdwa v6, v1, v39 dst_sel:DWORD dst_unused:UNUSED_PAD src0_sel:DWORD src1_sel:WORD_1
	v_fmac_f16_e32 v9, v2, v40
	v_fmac_f16_e32 v10, v4, v42
	v_mul_f16_sdwa v2, v4, v42 dst_sel:DWORD dst_unused:UNUSED_PAD src0_sel:DWORD src1_sel:WORD_1
	s_waitcnt lgkmcnt(1)
	v_lshrrev_b32_e32 v4, 16, v47
	v_mul_f16_sdwa v5, v47, v41 dst_sel:DWORD dst_unused:UNUSED_PAD src0_sel:DWORD src1_sel:WORD_1
	v_fma_f16 v7, v1, v39, -v3
	v_fmac_f16_e32 v6, v21, v39
	ds_read2_b32 v[39:40], v70 offset0:120 offset1:228
	v_mul_f16_sdwa v18, v4, v41 dst_sel:DWORD dst_unused:UNUSED_PAD src0_sel:DWORD src1_sel:WORD_1
	v_fma_f16 v16, v4, v41, -v5
	v_lshrrev_b32_e32 v5, 16, v17
	v_fma_f16 v11, v12, v42, -v2
	v_lshrrev_b32_e32 v2, 16, v22
	v_fmac_f16_e32 v18, v47, v41
	ds_read2_b32 v[41:42], v77 offset0:80 offset1:188
	s_waitcnt vmcnt(5)
	v_mul_f16_sdwa v4, v5, v44 dst_sel:DWORD dst_unused:UNUSED_PAD src0_sel:DWORD src1_sel:WORD_1
	v_lshrrev_b32_e32 v8, 16, v48
	v_mul_f16_sdwa v12, v22, v43 dst_sel:DWORD dst_unused:UNUSED_PAD src0_sel:DWORD src1_sel:WORD_1
	v_mul_f16_sdwa v13, v17, v44 dst_sel:DWORD dst_unused:UNUSED_PAD src0_sel:DWORD src1_sel:WORD_1
	;; [unrolled: 1-line block ×3, first 2 shown]
	v_fmac_f16_e32 v4, v17, v44
	s_waitcnt lgkmcnt(2)
	v_lshrrev_b32_e32 v17, 16, v49
	v_mul_f16_sdwa v21, v49, v46 dst_sel:DWORD dst_unused:UNUSED_PAD src0_sel:DWORD src1_sel:WORD_1
	v_mul_f16_sdwa v1, v2, v43 dst_sel:DWORD dst_unused:UNUSED_PAD src0_sel:DWORD src1_sel:WORD_1
	;; [unrolled: 1-line block ×3, first 2 shown]
	v_fma_f16 v2, v2, v43, -v12
	v_mul_f16_sdwa v12, v17, v46 dst_sel:DWORD dst_unused:UNUSED_PAD src0_sel:DWORD src1_sel:WORD_1
	v_fma_f16 v13, v5, v44, -v13
	v_fma_f16 v5, v8, v45, -v14
	;; [unrolled: 1-line block ×3, first 2 shown]
	s_waitcnt lgkmcnt(1)
	v_lshrrev_b32_e32 v14, 16, v39
	v_lshrrev_b32_e32 v21, 16, v40
	ds_read_b32 v47, v59
	v_fmac_f16_e32 v1, v22, v43
	v_fmac_f16_e32 v3, v48, v45
	v_lshrrev_b32_e32 v22, 16, v50
	v_fmac_f16_e32 v12, v49, v46
	s_waitcnt vmcnt(3)
	v_mul_f16_sdwa v44, v39, v51 dst_sel:DWORD dst_unused:UNUSED_PAD src0_sel:DWORD src1_sel:WORD_1
	v_mul_f16_sdwa v45, v14, v51 dst_sel:DWORD dst_unused:UNUSED_PAD src0_sel:DWORD src1_sel:WORD_1
	s_waitcnt vmcnt(2)
	v_mul_f16_sdwa v46, v21, v52 dst_sel:DWORD dst_unused:UNUSED_PAD src0_sel:DWORD src1_sel:WORD_1
	v_mul_f16_sdwa v43, v22, v23 dst_sel:DWORD dst_unused:UNUSED_PAD src0_sel:DWORD src1_sel:WORD_1
	;; [unrolled: 1-line block ×3, first 2 shown]
	v_fma_f16 v44, v14, v51, -v44
	v_fmac_f16_e32 v45, v39, v51
	s_waitcnt lgkmcnt(1)
	v_lshrrev_b32_e32 v14, 16, v41
	v_lshrrev_b32_e32 v39, 16, v42
	v_fmac_f16_e32 v46, v40, v52
	v_mul_f16_sdwa v40, v40, v52 dst_sel:DWORD dst_unused:UNUSED_PAD src0_sel:DWORD src1_sel:WORD_1
	s_waitcnt vmcnt(1)
	v_mul_f16_sdwa v48, v41, v53 dst_sel:DWORD dst_unused:UNUSED_PAD src0_sel:DWORD src1_sel:WORD_1
	s_waitcnt vmcnt(0)
	v_mul_f16_sdwa v49, v42, v19 dst_sel:DWORD dst_unused:UNUSED_PAD src0_sel:DWORD src1_sel:WORD_1
	v_fmac_f16_e32 v43, v50, v23
	v_fma_f16 v23, v22, v23, -v17
	v_mul_f16_sdwa v22, v14, v53 dst_sel:DWORD dst_unused:UNUSED_PAD src0_sel:DWORD src1_sel:WORD_1
	v_mul_f16_sdwa v17, v39, v19 dst_sel:DWORD dst_unused:UNUSED_PAD src0_sel:DWORD src1_sel:WORD_1
	v_fma_f16 v40, v21, v52, -v40
	v_fma_f16 v21, v14, v53, -v48
	;; [unrolled: 1-line block ×3, first 2 shown]
	v_add_f16_e32 v39, v57, v76
	s_waitcnt lgkmcnt(0)
	v_lshrrev_b32_e32 v48, 16, v47
	v_add_f16_e32 v50, v47, v57
	v_add_f16_e32 v49, v56, v58
	v_fmac_f16_e32 v22, v41, v53
	v_fmac_f16_e32 v47, -0.5, v39
	v_sub_f16_e32 v39, v56, v58
	v_add_f16_e32 v51, v48, v56
	v_fmac_f16_e32 v48, -0.5, v49
	v_add_f16_e32 v49, v50, v76
	v_sub_f16_e32 v50, v57, v76
	v_fmamk_f16 v52, v39, 0xbaee, v47
	v_fmac_f16_e32 v47, 0x3aee, v39
	v_add_f16_e32 v39, v75, v23
	v_add_f16_e32 v56, v72, v43
	v_add_f16_e32 v57, v55, v75
	v_fmac_f16_e32 v17, v42, v19
	ds_read_b32 v41, v68
	ds_read_b32 v42, v89
	ds_read_b32 v19, v88
	v_fmac_f16_e32 v55, -0.5, v39
	v_sub_f16_e32 v39, v72, v43
	v_add_f16_e32 v51, v51, v58
	v_fmamk_f16 v53, v50, 0x3aee, v48
	v_add_f16_e32 v58, v54, v72
	v_fmac_f16_e32 v54, -0.5, v56
	v_sub_f16_e32 v56, v75, v23
	v_fmac_f16_e32 v48, 0xbaee, v50
	v_fmamk_f16 v50, v39, 0x3aee, v55
	v_fmac_f16_e32 v55, 0xbaee, v39
	v_add_f16_e32 v43, v58, v43
	v_fmamk_f16 v39, v56, 0xbaee, v54
	v_fmac_f16_e32 v54, 0x3aee, v56
	v_mul_f16_e32 v56, 0xbaee, v50
	v_mul_f16_e32 v50, 0.5, v50
	v_mul_f16_e32 v58, 0xbaee, v55
	v_mul_f16_e32 v55, -0.5, v55
	v_add_f16_e32 v23, v57, v23
	v_fmac_f16_e32 v56, 0.5, v39
	v_fmac_f16_e32 v50, 0x3aee, v39
	v_add_f16_e32 v57, v78, v81
	v_fmac_f16_e32 v55, 0x3aee, v54
	v_fmac_f16_e32 v58, -0.5, v54
	v_add_f16_e32 v39, v49, v43
	v_sub_f16_e32 v43, v49, v43
	v_add_f16_e32 v49, v52, v56
	v_sub_f16_e32 v52, v52, v56
	;; [unrolled: 2-line block ×5, first 2 shown]
	s_waitcnt lgkmcnt(2)
	v_lshrrev_b32_e32 v55, 16, v41
	v_add_f16_e32 v70, v41, v78
	v_fmac_f16_e32 v41, -0.5, v57
	v_sub_f16_e32 v57, v90, v74
	v_add_f16_e32 v54, v47, v58
	v_sub_f16_e32 v47, v47, v58
	v_add_f16_e32 v58, v90, v74
	v_add_f16_e32 v71, v55, v90
	v_fmamk_f16 v72, v57, 0xbaee, v41
	v_fmac_f16_e32 v41, 0x3aee, v57
	v_add_f16_e32 v57, v92, v44
	v_fmac_f16_e32 v55, -0.5, v58
	v_add_f16_e32 v58, v70, v81
	v_sub_f16_e32 v70, v78, v81
	v_add_f16_e32 v75, v93, v45
	v_add_f16_e32 v76, v91, v92
	v_fmac_f16_e32 v91, -0.5, v57
	v_sub_f16_e32 v57, v93, v45
	v_add_f16_e32 v71, v71, v74
	v_fmamk_f16 v74, v70, 0x3aee, v55
	v_add_f16_e32 v77, v73, v93
	v_fmac_f16_e32 v73, -0.5, v75
	v_sub_f16_e32 v75, v92, v44
	v_fmac_f16_e32 v55, 0xbaee, v70
	v_fmamk_f16 v70, v57, 0x3aee, v91
	v_fmac_f16_e32 v91, 0xbaee, v57
	v_add_f16_e32 v45, v77, v45
	v_fmamk_f16 v57, v75, 0xbaee, v73
	v_fmac_f16_e32 v73, 0x3aee, v75
	v_mul_f16_e32 v75, 0xbaee, v70
	v_mul_f16_e32 v77, 0xbaee, v91
	v_mul_f16_e32 v70, 0.5, v70
	v_mul_f16_e32 v78, -0.5, v91
	v_add_f16_e32 v44, v76, v44
	v_add_f16_e32 v76, v97, v99
	v_fmac_f16_e32 v77, -0.5, v73
	v_fmac_f16_e32 v75, 0.5, v57
	v_fmac_f16_e32 v70, 0x3aee, v57
	v_fmac_f16_e32 v78, 0x3aee, v73
	s_waitcnt lgkmcnt(1)
	v_add_f16_e32 v81, v42, v97
	v_add_f16_e32 v73, v41, v77
	v_sub_f16_e32 v41, v41, v77
	v_lshrrev_b32_e32 v77, 16, v42
	v_fmac_f16_e32 v42, -0.5, v76
	v_sub_f16_e32 v76, v79, v98
	v_add_f16_e32 v57, v58, v45
	v_sub_f16_e32 v45, v58, v45
	v_add_f16_e32 v58, v72, v75
	;; [unrolled: 2-line block ×6, first 2 shown]
	v_fmamk_f16 v90, v76, 0xbaee, v42
	v_fmac_f16_e32 v42, 0x3aee, v76
	v_add_f16_e32 v76, v80, v40
	v_add_f16_e32 v79, v77, v79
	v_fmac_f16_e32 v77, -0.5, v78
	v_add_f16_e32 v78, v81, v99
	v_sub_f16_e32 v81, v97, v99
	v_add_f16_e32 v92, v95, v46
	v_add_f16_e32 v93, v96, v80
	v_fmac_f16_e32 v96, -0.5, v76
	v_sub_f16_e32 v76, v95, v46
	v_fmamk_f16 v91, v81, 0x3aee, v77
	v_add_f16_e32 v95, v94, v95
	v_fmac_f16_e32 v94, -0.5, v92
	v_sub_f16_e32 v80, v80, v40
	v_fmac_f16_e32 v77, 0xbaee, v81
	v_fmamk_f16 v81, v76, 0x3aee, v96
	v_fmac_f16_e32 v96, 0xbaee, v76
	v_add_f16_e32 v46, v95, v46
	v_fmamk_f16 v76, v80, 0xbaee, v94
	v_fmac_f16_e32 v94, 0x3aee, v80
	v_mul_f16_e32 v80, 0xbaee, v81
	v_mul_f16_e32 v92, 0xbaee, v96
	v_mul_f16_e32 v81, 0.5, v81
	v_mul_f16_e32 v95, -0.5, v96
	v_pack_b32_f16 v39, v39, v56
	v_pack_b32_f16 v49, v49, v51
	;; [unrolled: 1-line block ×3, first 2 shown]
	v_add_f16_e32 v79, v79, v98
	v_add_f16_e32 v40, v93, v40
	v_fmac_f16_e32 v80, 0.5, v76
	v_fmac_f16_e32 v92, -0.5, v94
	v_fmac_f16_e32 v81, 0x3aee, v76
	v_pack_b32_f16 v23, v43, v23
	v_fmac_f16_e32 v95, 0x3aee, v94
	s_waitcnt lgkmcnt(0)
	s_barrier
	buffer_gl0_inv
	ds_write_b32 v59, v39
	ds_write_b32 v59, v49 offset:2160
	ds_write_b32 v59, v51 offset:4320
	v_pack_b32_f16 v39, v52, v50
	v_pack_b32_f16 v43, v47, v48
	;; [unrolled: 1-line block ×3, first 2 shown]
	v_add_f16_e32 v76, v78, v46
	v_sub_f16_e32 v46, v78, v46
	v_add_f16_e32 v78, v90, v80
	v_sub_f16_e32 v80, v90, v80
	;; [unrolled: 2-line block ×3, first 2 shown]
	v_add_f16_e32 v92, v79, v40
	v_pack_b32_f16 v48, v58, v71
	v_sub_f16_e32 v40, v79, v40
	v_add_f16_e32 v79, v91, v81
	ds_write_b32 v59, v23 offset:6480
	ds_write_b32 v59, v39 offset:8640
	;; [unrolled: 1-line block ×3, first 2 shown]
	ds_write_b32 v68, v47
	ds_write_b32 v68, v48 offset:2160
	v_pack_b32_f16 v23, v73, v74
	v_sub_f16_e32 v81, v91, v81
	v_add_f16_e32 v91, v77, v95
	v_pack_b32_f16 v39, v45, v44
	v_pack_b32_f16 v43, v72, v70
	;; [unrolled: 1-line block ×4, first 2 shown]
	ds_write_b32 v68, v23 offset:4320
	ds_write_b32 v68, v39 offset:6480
	;; [unrolled: 1-line block ×4, first 2 shown]
	ds_write_b32 v89, v44
	v_pack_b32_f16 v23, v78, v79
	v_pack_b32_f16 v39, v90, v91
	;; [unrolled: 1-line block ×4, first 2 shown]
	ds_write_b32 v89, v23 offset:2160
	ds_write_b32 v89, v39 offset:4320
	;; [unrolled: 1-line block ×4, first 2 shown]
	v_add_f16_e32 v23, v9, v10
	v_sub_f16_e32 v77, v77, v95
	v_lshrrev_b32_e32 v39, 16, v19
	v_add_f16_e32 v40, v15, v11
	v_add_f16_e32 v41, v19, v9
	v_fmac_f16_e32 v19, -0.5, v23
	v_sub_f16_e32 v23, v15, v11
	v_pack_b32_f16 v42, v42, v77
	v_add_f16_e32 v15, v39, v15
	v_fmac_f16_e32 v39, -0.5, v40
	v_add_f16_e32 v40, v41, v10
	v_sub_f16_e32 v9, v9, v10
	v_fmamk_f16 v10, v23, 0xbaee, v19
	v_fmac_f16_e32 v19, 0x3aee, v23
	v_add_f16_e32 v23, v16, v21
	ds_write_b32 v89, v42 offset:10800
	v_add_f16_e32 v41, v18, v22
	v_add_f16_e32 v42, v7, v16
	;; [unrolled: 1-line block ×3, first 2 shown]
	v_fmac_f16_e32 v7, -0.5, v23
	v_sub_f16_e32 v23, v18, v22
	v_fmamk_f16 v15, v9, 0x3aee, v39
	v_add_f16_e32 v18, v6, v18
	v_fmac_f16_e32 v6, -0.5, v41
	v_sub_f16_e32 v16, v16, v21
	v_fmac_f16_e32 v39, 0xbaee, v9
	v_fmamk_f16 v9, v23, 0x3aee, v7
	v_fmac_f16_e32 v7, 0xbaee, v23
	v_add_f16_e32 v18, v18, v22
	v_fmamk_f16 v22, v16, 0xbaee, v6
	v_fmac_f16_e32 v6, 0x3aee, v16
	v_mul_f16_e32 v16, 0xbaee, v9
	v_mul_f16_e32 v9, 0.5, v9
	v_mul_f16_e32 v23, 0xbaee, v7
	v_mul_f16_e32 v7, -0.5, v7
	v_add_f16_e32 v21, v42, v21
	v_fmac_f16_e32 v16, 0.5, v22
	v_fmac_f16_e32 v9, 0x3aee, v22
	v_fmac_f16_e32 v23, -0.5, v6
	v_fmac_f16_e32 v7, 0x3aee, v6
	v_add_f16_e32 v6, v40, v18
	v_sub_f16_e32 v18, v40, v18
	v_add_f16_e32 v40, v4, v12
	v_add_f16_e32 v22, v10, v16
	v_sub_f16_e32 v10, v10, v16
	v_add_f16_e32 v16, v19, v23
	v_sub_f16_e32 v19, v19, v23
	;; [unrolled: 2-line block ×5, first 2 shown]
	v_lshrrev_b32_e32 v39, 16, v0
	v_add_f16_e32 v41, v13, v8
	v_add_f16_e32 v42, v0, v4
	v_fmac_f16_e32 v0, -0.5, v40
	v_sub_f16_e32 v40, v13, v8
	v_add_f16_e32 v13, v39, v13
	v_fmac_f16_e32 v39, -0.5, v41
	v_add_f16_e32 v41, v42, v12
	v_sub_f16_e32 v4, v4, v12
	v_fmamk_f16 v12, v40, 0xbaee, v0
	v_fmac_f16_e32 v0, 0x3aee, v40
	v_add_f16_e32 v40, v5, v14
	v_add_f16_e32 v42, v3, v17
	;; [unrolled: 1-line block ×4, first 2 shown]
	v_fmamk_f16 v13, v4, 0x3aee, v39
	v_fmac_f16_e32 v2, -0.5, v40
	v_sub_f16_e32 v40, v3, v17
	v_add_f16_e32 v3, v1, v3
	v_fmac_f16_e32 v1, -0.5, v42
	v_sub_f16_e32 v5, v5, v14
	v_fmac_f16_e32 v39, 0xbaee, v4
	v_fmamk_f16 v4, v40, 0x3aee, v2
	v_fmac_f16_e32 v2, 0xbaee, v40
	v_add_f16_e32 v3, v3, v17
	v_fmamk_f16 v17, v5, 0xbaee, v1
	v_fmac_f16_e32 v1, 0x3aee, v5
	v_mul_f16_e32 v5, 0xbaee, v4
	v_mul_f16_e32 v40, 0xbaee, v2
	v_mul_f16_e32 v4, 0.5, v4
	v_mul_f16_e32 v2, -0.5, v2
	v_add_f16_e32 v14, v43, v14
	v_fmac_f16_e32 v5, 0.5, v17
	v_fmac_f16_e32 v40, -0.5, v1
	v_fmac_f16_e32 v4, 0x3aee, v17
	v_pack_b32_f16 v6, v6, v23
	v_fmac_f16_e32 v2, 0x3aee, v1
	v_add_f16_e32 v17, v12, v5
	v_sub_f16_e32 v5, v12, v5
	v_add_f16_e32 v12, v0, v40
	v_sub_f16_e32 v0, v0, v40
	;; [unrolled: 2-line block ×3, first 2 shown]
	v_pack_b32_f16 v14, v22, v21
	v_add_f16_e32 v1, v41, v3
	v_add_f16_e32 v21, v13, v4
	ds_write_b32 v88, v6
	ds_write_b32 v88, v14 offset:2160
	v_pack_b32_f16 v6, v16, v15
	v_sub_f16_e32 v4, v13, v4
	v_add_f16_e32 v13, v39, v2
	v_pack_b32_f16 v11, v18, v11
	v_sub_f16_e32 v3, v41, v3
	v_pack_b32_f16 v9, v10, v9
	v_pack_b32_f16 v7, v19, v7
	v_sub_f16_e32 v2, v39, v2
	v_pack_b32_f16 v1, v1, v40
	ds_write_b32 v88, v6 offset:4320
	ds_write_b32 v88, v11 offset:6480
	;; [unrolled: 1-line block ×4, first 2 shown]
	ds_write_b32 v87, v1
	v_pack_b32_f16 v1, v17, v21
	v_pack_b32_f16 v6, v12, v13
	;; [unrolled: 1-line block ×5, first 2 shown]
	ds_write_b32 v87, v1 offset:2160
	ds_write_b32 v87, v6 offset:4320
	;; [unrolled: 1-line block ×5, first 2 shown]
	s_waitcnt lgkmcnt(0)
	s_barrier
	buffer_gl0_inv
	ds_read_b32 v12, v59
	v_sub_nc_u32_e32 v0, 0, v25
                                        ; implicit-def: $vgpr11
                                        ; implicit-def: $vgpr10
                                        ; implicit-def: $vgpr9
	v_cmpx_ne_u32_e32 0, v24
	s_xor_b32 s5, exec_lo, s5
	s_cbranch_execz .LBB0_15
; %bb.14:
	v_mov_b32_e32 v25, v20
	v_lshlrev_b64 v[1:2], 2, v[24:25]
	v_add_co_u32 v1, s0, s1, v1
	v_add_co_ci_u32_e64 v2, s0, s4, v2, s0
	global_load_dword v1, v[1:2], off
	ds_read_b32 v2, v0 offset:12960
	s_waitcnt lgkmcnt(0)
	v_sub_f16_e32 v3, v12, v2
	v_add_f16_sdwa v4, v2, v12 dst_sel:DWORD dst_unused:UNUSED_PAD src0_sel:WORD_1 src1_sel:WORD_1
	v_sub_f16_sdwa v5, v12, v2 dst_sel:DWORD dst_unused:UNUSED_PAD src0_sel:WORD_1 src1_sel:WORD_1
	v_add_f16_e32 v2, v2, v12
	v_mul_f16_e32 v3, 0.5, v3
	v_mul_f16_e32 v4, 0.5, v4
	;; [unrolled: 1-line block ×3, first 2 shown]
	s_waitcnt vmcnt(0)
	v_lshrrev_b32_e32 v6, 16, v1
	v_mul_f16_e32 v7, v6, v3
	v_fma_f16 v8, v4, v6, v5
	v_fma_f16 v5, v4, v6, -v5
	v_fma_f16 v12, 0.5, v2, v7
	v_fma_f16 v2, v2, 0.5, -v7
	v_fma_f16 v9, -v1, v3, v8
	v_fma_f16 v11, -v1, v3, v5
	v_fmac_f16_e32 v12, v1, v4
	v_fma_f16 v10, -v1, v4, v2
	ds_write_b16 v59, v12
                                        ; implicit-def: $vgpr12
.LBB0_15:
	s_or_saveexec_b32 s0, s5
	v_sub_nc_u32_e32 v8, 0, v32
	v_sub_nc_u32_e32 v7, 0, v69
	;; [unrolled: 1-line block ×8, first 2 shown]
	s_xor_b32 exec_lo, exec_lo, s0
	s_cbranch_execz .LBB0_17
; %bb.16:
	v_mov_b32_e32 v9, 0
	s_waitcnt lgkmcnt(0)
	v_add_f16_sdwa v13, v12, v12 dst_sel:DWORD dst_unused:UNUSED_PAD src0_sel:WORD_1 src1_sel:DWORD
	v_sub_f16_sdwa v10, v12, v12 dst_sel:DWORD dst_unused:UNUSED_PAD src0_sel:DWORD src1_sel:WORD_1
	ds_read_u16 v11, v9 offset:6482
	s_waitcnt lgkmcnt(0)
	v_xor_b32_e32 v12, 0x8000, v11
	v_mov_b32_e32 v11, 0
	ds_write_b16 v59, v13
	ds_write_b16 v9, v12 offset:6482
.LBB0_17:
	s_or_b32 exec_lo, exec_lo, s0
	v_mov_b32_e32 v27, 0
	v_add_nc_u32_e32 v8, v67, v8
	s_waitcnt lgkmcnt(0)
	v_lshlrev_b64 v[12:13], 2, v[26:27]
	v_mov_b32_e32 v39, v27
	v_mov_b32_e32 v32, v27
	v_add_nc_u32_e32 v26, 0x438, v24
	v_add_co_u32 v12, s0, s1, v12
	v_add_co_ci_u32_e64 v13, s0, s4, v13, s0
	global_load_dword v14, v[12:13], off
	v_lshlrev_b64 v[12:13], 2, v[38:39]
	v_mov_b32_e32 v38, v27
	v_add_co_u32 v12, s0, s1, v12
	v_add_co_ci_u32_e64 v13, s0, s4, v13, s0
	global_load_dword v15, v[12:13], off
	v_lshlrev_b64 v[12:13], 2, v[37:38]
	v_mov_b32_e32 v37, v27
	;; [unrolled: 5-line block ×4, first 2 shown]
	v_add_co_u32 v12, s0, s1, v12
	v_add_co_ci_u32_e64 v13, s0, s4, v13, s0
	global_load_dword v13, v[12:13], off
	v_perm_b32 v12, v11, v10, 0x5040100
	v_lshlrev_b64 v[10:11], 2, v[34:35]
	ds_write_b16 v59, v9 offset:2
	ds_write_b32 v0, v12 offset:12960
	ds_read_b32 v18, v68
	ds_read_b32 v19, v0 offset:12528
	v_mov_b32_e32 v34, v27
	v_add_co_u32 v9, s0, s1, v10
	v_add_co_ci_u32_e64 v10, s0, s4, v11, s0
	v_lshlrev_b64 v[11:12], 2, v[33:34]
	global_load_dword v20, v[9:10], off
	v_lshlrev_b64 v[9:10], 2, v[31:32]
	v_mov_b32_e32 v31, v27
	v_add_co_u32 v9, s0, s1, v9
	v_add_co_ci_u32_e64 v10, s0, s4, v10, s0
	v_add_co_u32 v11, s0, s1, v11
	v_add_co_ci_u32_e64 v12, s0, s4, v12, s0
	s_waitcnt lgkmcnt(0)
	v_pk_add_f16 v21, v18, v19 neg_lo:[0,1] neg_hi:[0,1]
	v_pk_add_f16 v18, v18, v19
	s_clause 0x1
	global_load_dword v9, v[9:10], off
	global_load_dword v10, v[11:12], off
	v_bfi_b32 v19, 0xffff, v21, v18
	v_bfi_b32 v18, 0xffff, v18, v21
	v_pk_mul_f16 v19, v19, 0.5 op_sel_hi:[1,0]
	v_pk_mul_f16 v18, v18, 0.5 op_sel_hi:[1,0]
	s_waitcnt vmcnt(7)
	v_pk_fma_f16 v11, v14, v19, v18 op_sel:[1,0,0]
	v_pk_mul_f16 v12, v14, v19 op_sel_hi:[0,1]
	v_pk_fma_f16 v21, v14, v19, v18 op_sel:[1,0,0] neg_lo:[1,0,0] neg_hi:[1,0,0]
	v_pk_fma_f16 v14, v14, v19, v18 op_sel:[1,0,0] neg_lo:[0,0,1] neg_hi:[0,0,1]
	v_pk_add_f16 v18, v11, v12 op_sel:[0,1] op_sel_hi:[1,0]
	v_pk_add_f16 v11, v11, v12 op_sel:[0,1] op_sel_hi:[1,0] neg_lo:[0,1] neg_hi:[0,1]
	v_pk_add_f16 v19, v21, v12 op_sel:[0,1] op_sel_hi:[1,0] neg_lo:[0,1] neg_hi:[0,1]
	;; [unrolled: 1-line block ×3, first 2 shown]
	v_bfi_b32 v11, 0xffff, v18, v11
	v_bfi_b32 v12, 0xffff, v19, v12
	ds_write_b32 v68, v11
	ds_write_b32 v0, v12 offset:12528
	ds_read_b32 v11, v8
	ds_read_b32 v12, v0 offset:12096
	s_waitcnt lgkmcnt(0)
	v_pk_add_f16 v14, v11, v12 neg_lo:[0,1] neg_hi:[0,1]
	v_pk_add_f16 v11, v11, v12
	v_bfi_b32 v12, 0xffff, v14, v11
	v_bfi_b32 v11, 0xffff, v11, v14
	v_pk_mul_f16 v12, v12, 0.5 op_sel_hi:[1,0]
	v_pk_mul_f16 v11, v11, 0.5 op_sel_hi:[1,0]
	s_waitcnt vmcnt(6)
	v_pk_mul_f16 v18, v15, v12 op_sel_hi:[0,1]
	v_pk_fma_f16 v14, v15, v12, v11 op_sel:[1,0,0]
	v_pk_fma_f16 v19, v15, v12, v11 op_sel:[1,0,0] neg_lo:[1,0,0] neg_hi:[1,0,0]
	v_pk_fma_f16 v11, v15, v12, v11 op_sel:[1,0,0] neg_lo:[0,0,1] neg_hi:[0,0,1]
	v_pk_add_f16 v12, v14, v18 op_sel:[0,1] op_sel_hi:[1,0]
	v_pk_add_f16 v14, v14, v18 op_sel:[0,1] op_sel_hi:[1,0] neg_lo:[0,1] neg_hi:[0,1]
	v_pk_add_f16 v15, v19, v18 op_sel:[0,1] op_sel_hi:[1,0] neg_lo:[0,1] neg_hi:[0,1]
	;; [unrolled: 1-line block ×3, first 2 shown]
	v_bfi_b32 v12, 0xffff, v12, v14
	v_add_nc_u32_e32 v14, v66, v7
	v_bfi_b32 v11, 0xffff, v15, v11
	ds_write_b32 v8, v12
	ds_write_b32 v0, v11 offset:12096
	ds_read_b32 v7, v14
	ds_read_b32 v8, v0 offset:11664
	s_waitcnt lgkmcnt(0)
	v_pk_add_f16 v11, v7, v8 neg_lo:[0,1] neg_hi:[0,1]
	v_pk_add_f16 v7, v7, v8
	v_bfi_b32 v8, 0xffff, v11, v7
	v_bfi_b32 v7, 0xffff, v7, v11
	v_pk_mul_f16 v8, v8, 0.5 op_sel_hi:[1,0]
	v_pk_mul_f16 v7, v7, 0.5 op_sel_hi:[1,0]
	s_waitcnt vmcnt(5)
	v_pk_mul_f16 v12, v16, v8 op_sel_hi:[0,1]
	v_pk_fma_f16 v11, v16, v8, v7 op_sel:[1,0,0]
	v_pk_fma_f16 v15, v16, v8, v7 op_sel:[1,0,0] neg_lo:[1,0,0] neg_hi:[1,0,0]
	v_pk_fma_f16 v7, v16, v8, v7 op_sel:[1,0,0] neg_lo:[0,0,1] neg_hi:[0,0,1]
	v_pk_add_f16 v8, v11, v12 op_sel:[0,1] op_sel_hi:[1,0]
	v_pk_add_f16 v11, v11, v12 op_sel:[0,1] op_sel_hi:[1,0] neg_lo:[0,1] neg_hi:[0,1]
	v_pk_add_f16 v15, v15, v12 op_sel:[0,1] op_sel_hi:[1,0] neg_lo:[0,1] neg_hi:[0,1]
	;; [unrolled: 1-line block ×3, first 2 shown]
	v_add_nc_u32_e32 v12, v65, v6
	v_bfi_b32 v8, 0xffff, v8, v11
	v_bfi_b32 v11, 0xffff, v15, v7
	v_lshlrev_b64 v[6:7], 2, v[30:31]
	ds_write_b32 v14, v8
	ds_write_b32 v0, v11 offset:11664
	ds_read_b32 v8, v12
	ds_read_b32 v11, v0 offset:11232
	v_add_co_u32 v6, s0, s1, v6
	v_add_co_ci_u32_e64 v7, s0, s4, v7, s0
	global_load_dword v7, v[6:7], off
	s_waitcnt lgkmcnt(0)
	v_pk_add_f16 v6, v8, v11 neg_lo:[0,1] neg_hi:[0,1]
	v_pk_add_f16 v8, v8, v11
	v_bfi_b32 v11, 0xffff, v6, v8
	v_bfi_b32 v6, 0xffff, v8, v6
	v_pk_mul_f16 v8, v11, 0.5 op_sel_hi:[1,0]
	v_pk_mul_f16 v6, v6, 0.5 op_sel_hi:[1,0]
	s_waitcnt vmcnt(5)
	v_pk_mul_f16 v14, v17, v8 op_sel_hi:[0,1]
	v_pk_fma_f16 v11, v17, v8, v6 op_sel:[1,0,0]
	v_pk_fma_f16 v15, v17, v8, v6 op_sel:[1,0,0] neg_lo:[1,0,0] neg_hi:[1,0,0]
	v_pk_fma_f16 v6, v17, v8, v6 op_sel:[1,0,0] neg_lo:[0,0,1] neg_hi:[0,0,1]
	v_pk_add_f16 v8, v11, v14 op_sel:[0,1] op_sel_hi:[1,0]
	v_pk_add_f16 v11, v11, v14 op_sel:[0,1] op_sel_hi:[1,0] neg_lo:[0,1] neg_hi:[0,1]
	v_pk_add_f16 v15, v15, v14 op_sel:[0,1] op_sel_hi:[1,0] neg_lo:[0,1] neg_hi:[0,1]
	v_pk_add_f16 v6, v6, v14 op_sel:[0,1] op_sel_hi:[1,0] neg_lo:[0,1] neg_hi:[0,1]
	v_add_nc_u32_e32 v14, v64, v5
	v_bfi_b32 v8, 0xffff, v8, v11
	v_bfi_b32 v11, 0xffff, v15, v6
	v_lshlrev_b64 v[5:6], 2, v[26:27]
	ds_write_b32 v12, v8
	ds_write_b32 v0, v11 offset:11232
	ds_read_b32 v8, v14
	ds_read_b32 v11, v0 offset:10800
	v_add_nc_u32_e32 v26, 0x4a4, v24
	v_add_co_u32 v5, s0, s1, v5
	v_add_co_ci_u32_e64 v6, s0, s4, v6, s0
	global_load_dword v6, v[5:6], off
	s_waitcnt lgkmcnt(0)
	v_pk_add_f16 v5, v8, v11 neg_lo:[0,1] neg_hi:[0,1]
	v_pk_add_f16 v8, v8, v11
	v_bfi_b32 v11, 0xffff, v5, v8
	v_bfi_b32 v5, 0xffff, v8, v5
	v_pk_mul_f16 v8, v11, 0.5 op_sel_hi:[1,0]
	v_pk_mul_f16 v5, v5, 0.5 op_sel_hi:[1,0]
	s_waitcnt vmcnt(5)
	v_pk_mul_f16 v12, v13, v8 op_sel_hi:[0,1]
	v_pk_fma_f16 v11, v13, v8, v5 op_sel:[1,0,0]
	v_pk_fma_f16 v15, v13, v8, v5 op_sel:[1,0,0] neg_lo:[1,0,0] neg_hi:[1,0,0]
	v_pk_fma_f16 v5, v13, v8, v5 op_sel:[1,0,0] neg_lo:[0,0,1] neg_hi:[0,0,1]
	v_pk_add_f16 v8, v11, v12 op_sel:[0,1] op_sel_hi:[1,0]
	v_pk_add_f16 v11, v11, v12 op_sel:[0,1] op_sel_hi:[1,0] neg_lo:[0,1] neg_hi:[0,1]
	v_pk_add_f16 v13, v15, v12 op_sel:[0,1] op_sel_hi:[1,0] neg_lo:[0,1] neg_hi:[0,1]
	v_pk_add_f16 v5, v5, v12 op_sel:[0,1] op_sel_hi:[1,0] neg_lo:[0,1] neg_hi:[0,1]
	v_add_nc_u32_e32 v12, v63, v4
	v_bfi_b32 v8, 0xffff, v8, v11
	v_bfi_b32 v11, 0xffff, v13, v5
	v_lshlrev_b64 v[4:5], 2, v[26:27]
	ds_write_b32 v14, v8
	ds_write_b32 v0, v11 offset:10800
	ds_read_b32 v8, v12
	ds_read_b32 v11, v0 offset:10368
	v_add_nc_u32_e32 v26, 0x510, v24
	;; [unrolled: 28-line block ×3, first 2 shown]
	v_add_co_u32 v3, s0, s1, v3
	v_add_co_ci_u32_e64 v4, s0, s4, v4, s0
	global_load_dword v4, v[3:4], off
	s_waitcnt lgkmcnt(0)
	v_pk_add_f16 v3, v8, v11 neg_lo:[0,1] neg_hi:[0,1]
	v_pk_add_f16 v8, v8, v11
	v_bfi_b32 v11, 0xffff, v3, v8
	v_bfi_b32 v3, 0xffff, v8, v3
	v_pk_mul_f16 v8, v11, 0.5 op_sel_hi:[1,0]
	v_pk_mul_f16 v3, v3, 0.5 op_sel_hi:[1,0]
	s_waitcnt vmcnt(5)
	v_pk_mul_f16 v12, v9, v8 op_sel_hi:[0,1]
	v_pk_fma_f16 v11, v9, v8, v3 op_sel:[1,0,0]
	v_pk_fma_f16 v14, v9, v8, v3 op_sel:[1,0,0] neg_lo:[1,0,0] neg_hi:[1,0,0]
	v_pk_fma_f16 v3, v9, v8, v3 op_sel:[1,0,0] neg_lo:[0,0,1] neg_hi:[0,0,1]
	v_pk_add_f16 v8, v11, v12 op_sel:[0,1] op_sel_hi:[1,0]
	v_pk_add_f16 v9, v11, v12 op_sel:[0,1] op_sel_hi:[1,0] neg_lo:[0,1] neg_hi:[0,1]
	v_pk_add_f16 v11, v14, v12 op_sel:[0,1] op_sel_hi:[1,0] neg_lo:[0,1] neg_hi:[0,1]
	;; [unrolled: 1-line block ×3, first 2 shown]
	v_bfi_b32 v8, 0xffff, v8, v9
	v_bfi_b32 v9, 0xffff, v11, v3
	v_add_nc_u32_e32 v11, v61, v2
	v_lshlrev_b64 v[2:3], 2, v[26:27]
	ds_write_b32 v13, v8
	ds_write_b32 v0, v9 offset:9936
	ds_read_b32 v8, v11
	ds_read_b32 v9, v0 offset:9504
	v_add_nc_u32_e32 v26, 0x5e8, v24
	v_add_co_u32 v2, s0, s1, v2
	v_add_co_ci_u32_e64 v3, s0, s4, v3, s0
	global_load_dword v3, v[2:3], off
	s_waitcnt lgkmcnt(0)
	v_pk_add_f16 v2, v8, v9 neg_lo:[0,1] neg_hi:[0,1]
	v_pk_add_f16 v8, v8, v9
	v_bfi_b32 v9, 0xffff, v2, v8
	v_bfi_b32 v2, 0xffff, v8, v2
	v_pk_mul_f16 v8, v9, 0.5 op_sel_hi:[1,0]
	v_pk_mul_f16 v2, v2, 0.5 op_sel_hi:[1,0]
	s_waitcnt vmcnt(5)
	v_pk_mul_f16 v12, v10, v8 op_sel_hi:[0,1]
	v_pk_fma_f16 v9, v10, v8, v2 op_sel:[1,0,0]
	v_pk_fma_f16 v13, v10, v8, v2 op_sel:[1,0,0] neg_lo:[1,0,0] neg_hi:[1,0,0]
	v_pk_fma_f16 v2, v10, v8, v2 op_sel:[1,0,0] neg_lo:[0,0,1] neg_hi:[0,0,1]
	v_pk_add_f16 v8, v9, v12 op_sel:[0,1] op_sel_hi:[1,0]
	v_pk_add_f16 v9, v9, v12 op_sel:[0,1] op_sel_hi:[1,0] neg_lo:[0,1] neg_hi:[0,1]
	v_pk_add_f16 v10, v13, v12 op_sel:[0,1] op_sel_hi:[1,0] neg_lo:[0,1] neg_hi:[0,1]
	;; [unrolled: 1-line block ×3, first 2 shown]
	v_bfi_b32 v8, 0xffff, v8, v9
	v_bfi_b32 v9, 0xffff, v10, v2
	v_add_nc_u32_e32 v10, v60, v1
	v_lshlrev_b64 v[1:2], 2, v[26:27]
	ds_write_b32 v11, v8
	ds_write_b32 v0, v9 offset:9504
	ds_read_b32 v8, v10
	ds_read_b32 v9, v0 offset:9072
	v_add_co_u32 v1, s0, s1, v1
	v_add_co_ci_u32_e64 v2, s0, s4, v2, s0
	global_load_dword v1, v[1:2], off
	s_waitcnt lgkmcnt(0)
	v_pk_add_f16 v2, v8, v9 neg_lo:[0,1] neg_hi:[0,1]
	v_pk_add_f16 v8, v8, v9
	v_bfi_b32 v9, 0xffff, v2, v8
	v_bfi_b32 v2, 0xffff, v8, v2
	v_pk_mul_f16 v8, v9, 0.5 op_sel_hi:[1,0]
	v_pk_mul_f16 v2, v2, 0.5 op_sel_hi:[1,0]
	s_waitcnt vmcnt(5)
	v_pk_fma_f16 v9, v7, v8, v2 op_sel:[1,0,0]
	v_pk_mul_f16 v11, v7, v8 op_sel_hi:[0,1]
	v_pk_fma_f16 v12, v7, v8, v2 op_sel:[1,0,0] neg_lo:[1,0,0] neg_hi:[1,0,0]
	v_pk_fma_f16 v2, v7, v8, v2 op_sel:[1,0,0] neg_lo:[0,0,1] neg_hi:[0,0,1]
	v_pk_add_f16 v7, v9, v11 op_sel:[0,1] op_sel_hi:[1,0]
	v_pk_add_f16 v8, v9, v11 op_sel:[0,1] op_sel_hi:[1,0] neg_lo:[0,1] neg_hi:[0,1]
	v_pk_add_f16 v9, v12, v11 op_sel:[0,1] op_sel_hi:[1,0] neg_lo:[0,1] neg_hi:[0,1]
	;; [unrolled: 1-line block ×3, first 2 shown]
	v_bfi_b32 v7, 0xffff, v7, v8
	v_bfi_b32 v2, 0xffff, v9, v2
	ds_write_b32 v10, v7
	ds_write_b32 v0, v2 offset:9072
	ds_read_b32 v2, v59 offset:4320
	ds_read_b32 v7, v0 offset:8640
	s_waitcnt lgkmcnt(0)
	v_pk_add_f16 v8, v2, v7 neg_lo:[0,1] neg_hi:[0,1]
	v_pk_add_f16 v2, v2, v7
	v_bfi_b32 v7, 0xffff, v8, v2
	v_bfi_b32 v2, 0xffff, v2, v8
	v_pk_mul_f16 v7, v7, 0.5 op_sel_hi:[1,0]
	v_pk_mul_f16 v2, v2, 0.5 op_sel_hi:[1,0]
	s_waitcnt vmcnt(4)
	v_pk_mul_f16 v9, v6, v7 op_sel_hi:[0,1]
	v_pk_fma_f16 v8, v6, v7, v2 op_sel:[1,0,0]
	v_pk_fma_f16 v10, v6, v7, v2 op_sel:[1,0,0] neg_lo:[1,0,0] neg_hi:[1,0,0]
	v_pk_fma_f16 v2, v6, v7, v2 op_sel:[1,0,0] neg_lo:[0,0,1] neg_hi:[0,0,1]
	v_pk_add_f16 v6, v8, v9 op_sel:[0,1] op_sel_hi:[1,0]
	v_pk_add_f16 v7, v8, v9 op_sel:[0,1] op_sel_hi:[1,0] neg_lo:[0,1] neg_hi:[0,1]
	v_pk_add_f16 v8, v10, v9 op_sel:[0,1] op_sel_hi:[1,0] neg_lo:[0,1] neg_hi:[0,1]
	v_pk_add_f16 v2, v2, v9 op_sel:[0,1] op_sel_hi:[1,0] neg_lo:[0,1] neg_hi:[0,1]
	v_bfi_b32 v6, 0xffff, v6, v7
	v_bfi_b32 v2, 0xffff, v8, v2
	ds_write_b32 v59, v6 offset:4320
	ds_write_b32 v0, v2 offset:8640
	ds_read_b32 v2, v59 offset:4752
	ds_read_b32 v6, v0 offset:8208
	s_waitcnt lgkmcnt(0)
	v_pk_add_f16 v7, v2, v6 neg_lo:[0,1] neg_hi:[0,1]
	v_pk_add_f16 v2, v2, v6
	v_bfi_b32 v6, 0xffff, v7, v2
	v_bfi_b32 v2, 0xffff, v2, v7
	v_pk_mul_f16 v6, v6, 0.5 op_sel_hi:[1,0]
	v_pk_mul_f16 v2, v2, 0.5 op_sel_hi:[1,0]
	s_waitcnt vmcnt(3)
	v_pk_mul_f16 v8, v5, v6 op_sel_hi:[0,1]
	v_pk_fma_f16 v7, v5, v6, v2 op_sel:[1,0,0]
	v_pk_fma_f16 v9, v5, v6, v2 op_sel:[1,0,0] neg_lo:[1,0,0] neg_hi:[1,0,0]
	v_pk_fma_f16 v2, v5, v6, v2 op_sel:[1,0,0] neg_lo:[0,0,1] neg_hi:[0,0,1]
	v_pk_add_f16 v5, v7, v8 op_sel:[0,1] op_sel_hi:[1,0]
	v_pk_add_f16 v6, v7, v8 op_sel:[0,1] op_sel_hi:[1,0] neg_lo:[0,1] neg_hi:[0,1]
	v_pk_add_f16 v7, v9, v8 op_sel:[0,1] op_sel_hi:[1,0] neg_lo:[0,1] neg_hi:[0,1]
	v_pk_add_f16 v2, v2, v8 op_sel:[0,1] op_sel_hi:[1,0] neg_lo:[0,1] neg_hi:[0,1]
	v_bfi_b32 v5, 0xffff, v5, v6
	v_bfi_b32 v2, 0xffff, v7, v2
	ds_write_b32 v59, v5 offset:4752
	ds_write_b32 v0, v2 offset:8208
	ds_read_b32 v2, v59 offset:5184
	ds_read_b32 v5, v0 offset:7776
	s_waitcnt lgkmcnt(0)
	v_pk_add_f16 v6, v2, v5 neg_lo:[0,1] neg_hi:[0,1]
	v_pk_add_f16 v2, v2, v5
	v_bfi_b32 v5, 0xffff, v6, v2
	v_bfi_b32 v2, 0xffff, v2, v6
	v_pk_mul_f16 v5, v5, 0.5 op_sel_hi:[1,0]
	v_pk_mul_f16 v2, v2, 0.5 op_sel_hi:[1,0]
	s_waitcnt vmcnt(2)
	v_pk_mul_f16 v7, v4, v5 op_sel_hi:[0,1]
	v_pk_fma_f16 v6, v4, v5, v2 op_sel:[1,0,0]
	v_pk_fma_f16 v8, v4, v5, v2 op_sel:[1,0,0] neg_lo:[1,0,0] neg_hi:[1,0,0]
	v_pk_fma_f16 v2, v4, v5, v2 op_sel:[1,0,0] neg_lo:[0,0,1] neg_hi:[0,0,1]
	v_pk_add_f16 v4, v6, v7 op_sel:[0,1] op_sel_hi:[1,0]
	v_pk_add_f16 v5, v6, v7 op_sel:[0,1] op_sel_hi:[1,0] neg_lo:[0,1] neg_hi:[0,1]
	v_pk_add_f16 v6, v8, v7 op_sel:[0,1] op_sel_hi:[1,0] neg_lo:[0,1] neg_hi:[0,1]
	v_pk_add_f16 v2, v2, v7 op_sel:[0,1] op_sel_hi:[1,0] neg_lo:[0,1] neg_hi:[0,1]
	v_bfi_b32 v4, 0xffff, v4, v5
	v_bfi_b32 v2, 0xffff, v6, v2
	ds_write_b32 v59, v4 offset:5184
	ds_write_b32 v0, v2 offset:7776
	ds_read_b32 v2, v59 offset:5616
	ds_read_b32 v4, v0 offset:7344
	s_waitcnt lgkmcnt(0)
	v_pk_add_f16 v5, v2, v4 neg_lo:[0,1] neg_hi:[0,1]
	v_pk_add_f16 v2, v2, v4
	v_bfi_b32 v4, 0xffff, v5, v2
	v_bfi_b32 v2, 0xffff, v2, v5
	v_pk_mul_f16 v4, v4, 0.5 op_sel_hi:[1,0]
	v_pk_mul_f16 v2, v2, 0.5 op_sel_hi:[1,0]
	s_waitcnt vmcnt(1)
	v_pk_fma_f16 v5, v3, v4, v2 op_sel:[1,0,0]
	v_pk_mul_f16 v6, v3, v4 op_sel_hi:[0,1]
	v_pk_fma_f16 v7, v3, v4, v2 op_sel:[1,0,0] neg_lo:[1,0,0] neg_hi:[1,0,0]
	v_pk_fma_f16 v2, v3, v4, v2 op_sel:[1,0,0] neg_lo:[0,0,1] neg_hi:[0,0,1]
	v_pk_add_f16 v3, v5, v6 op_sel:[0,1] op_sel_hi:[1,0]
	v_pk_add_f16 v4, v5, v6 op_sel:[0,1] op_sel_hi:[1,0] neg_lo:[0,1] neg_hi:[0,1]
	v_pk_add_f16 v5, v7, v6 op_sel:[0,1] op_sel_hi:[1,0] neg_lo:[0,1] neg_hi:[0,1]
	;; [unrolled: 1-line block ×3, first 2 shown]
	v_bfi_b32 v3, 0xffff, v3, v4
	v_bfi_b32 v2, 0xffff, v5, v2
	ds_write_b32 v59, v3 offset:5616
	ds_write_b32 v0, v2 offset:7344
	ds_read_b32 v2, v59 offset:6048
	ds_read_b32 v3, v0 offset:6912
	s_waitcnt lgkmcnt(0)
	v_pk_add_f16 v4, v2, v3 neg_lo:[0,1] neg_hi:[0,1]
	v_pk_add_f16 v2, v2, v3
	v_bfi_b32 v3, 0xffff, v4, v2
	v_bfi_b32 v2, 0xffff, v2, v4
	v_pk_mul_f16 v3, v3, 0.5 op_sel_hi:[1,0]
	v_pk_mul_f16 v2, v2, 0.5 op_sel_hi:[1,0]
	s_waitcnt vmcnt(0)
	v_pk_fma_f16 v4, v1, v3, v2 op_sel:[1,0,0]
	v_pk_mul_f16 v5, v1, v3 op_sel_hi:[0,1]
	v_pk_fma_f16 v6, v1, v3, v2 op_sel:[1,0,0] neg_lo:[1,0,0] neg_hi:[1,0,0]
	v_pk_fma_f16 v1, v1, v3, v2 op_sel:[1,0,0] neg_lo:[0,0,1] neg_hi:[0,0,1]
	v_pk_add_f16 v2, v4, v5 op_sel:[0,1] op_sel_hi:[1,0]
	v_pk_add_f16 v3, v4, v5 op_sel:[0,1] op_sel_hi:[1,0] neg_lo:[0,1] neg_hi:[0,1]
	v_pk_add_f16 v4, v6, v5 op_sel:[0,1] op_sel_hi:[1,0] neg_lo:[0,1] neg_hi:[0,1]
	;; [unrolled: 1-line block ×3, first 2 shown]
	v_bfi_b32 v2, 0xffff, v2, v3
	v_bfi_b32 v1, 0xffff, v4, v1
	ds_write_b32 v59, v2 offset:6048
	ds_write_b32 v0, v1 offset:6912
	s_waitcnt lgkmcnt(0)
	s_barrier
	buffer_gl0_inv
	s_and_saveexec_b32 s0, vcc_lo
	s_cbranch_execz .LBB0_20
; %bb.18:
	ds_read2_b32 v[2:3], v59 offset1:108
	v_add_nc_u32_e32 v6, 0x200, v59
	v_mov_b32_e32 v25, v27
	v_add_nc_u32_e32 v8, 0x600, v59
	v_add_nc_u32_e32 v10, 0x800, v59
	ds_read2_b32 v[6:7], v6 offset0:88 offset1:196
	ds_read2_b32 v[8:9], v8 offset0:48 offset1:156
	;; [unrolled: 1-line block ×3, first 2 shown]
	v_lshlrev_b64 v[4:5], 2, v[24:25]
	v_add_co_u32 v0, vcc_lo, s2, v28
	v_add_co_ci_u32_e32 v1, vcc_lo, s3, v29, vcc_lo
	v_add_nc_u32_e32 v12, 0xc00, v59
	v_add_co_u32 v4, vcc_lo, v0, v4
	v_add_co_ci_u32_e32 v5, vcc_lo, v1, v5, vcc_lo
	v_add_nc_u32_e32 v13, 0x1000, v59
	v_add_co_u32 v14, vcc_lo, 0x800, v4
	s_waitcnt lgkmcnt(3)
	global_store_dword v[4:5], v2, off
	global_store_dword v[4:5], v3, off offset:432
	ds_read2_b32 v[2:3], v12 offset0:96 offset1:204
	ds_read2_b32 v[12:13], v13 offset0:56 offset1:164
	v_add_nc_u32_e32 v16, 0x1400, v59
	v_add_co_ci_u32_e32 v15, vcc_lo, 0, v5, vcc_lo
	v_add_nc_u32_e32 v20, 0x2e00, v59
	ds_read2_b32 v[16:17], v16 offset0:16 offset1:124
	s_waitcnt lgkmcnt(5)
	global_store_dword v[4:5], v6, off offset:864
	global_store_dword v[4:5], v7, off offset:1296
	s_waitcnt lgkmcnt(4)
	global_store_dword v[4:5], v8, off offset:1728
	global_store_dword v[14:15], v9, off offset:112
	;; [unrolled: 3-line block ×3, first 2 shown]
	v_add_nc_u32_e32 v10, 0x1a00, v59
	v_add_nc_u32_e32 v6, 0x1600, v59
	v_add_co_u32 v8, vcc_lo, 0x1000, v4
	v_add_co_ci_u32_e32 v9, vcc_lo, 0, v5, vcc_lo
	ds_read2_b32 v[10:11], v10 offset0:64 offset1:172
	ds_read2_b32 v[6:7], v6 offset0:104 offset1:212
	s_waitcnt lgkmcnt(4)
	global_store_dword v[14:15], v2, off offset:1408
	global_store_dword v[14:15], v3, off offset:1840
	v_add_nc_u32_e32 v2, 0x1e00, v59
	s_waitcnt lgkmcnt(3)
	global_store_dword v[8:9], v12, off offset:224
	global_store_dword v[8:9], v13, off offset:656
	s_waitcnt lgkmcnt(2)
	global_store_dword v[8:9], v16, off offset:1088
	global_store_dword v[8:9], v17, off offset:1520
	v_add_co_u32 v12, vcc_lo, 0x1800, v4
	ds_read2_b32 v[2:3], v2 offset0:24 offset1:132
	v_add_co_ci_u32_e32 v13, vcc_lo, 0, v5, vcc_lo
	v_add_nc_u32_e32 v14, 0x2000, v59
	v_add_nc_u32_e32 v15, 0x2400, v59
	;; [unrolled: 1-line block ×3, first 2 shown]
	s_waitcnt lgkmcnt(2)
	global_store_dword v[12:13], v10, off offset:768
	v_add_nc_u32_e32 v10, 0x2a00, v59
	s_waitcnt lgkmcnt(1)
	global_store_dword v[8:9], v6, off offset:1952
	ds_read2_b32 v[8:9], v14 offset0:112 offset1:220
	global_store_dword v[12:13], v7, off offset:336
	ds_read2_b32 v[6:7], v15 offset0:72 offset1:180
	ds_read2_b32 v[18:19], v10 offset0:120 offset1:228
	global_store_dword v[12:13], v11, off offset:1200
	ds_read2_b32 v[10:11], v20 offset0:80 offset1:188
	ds_read2_b32 v[14:15], v16 offset0:32 offset1:140
	v_add_co_u32 v16, vcc_lo, 0x2000, v4
	v_add_co_ci_u32_e32 v17, vcc_lo, 0, v5, vcc_lo
	s_waitcnt lgkmcnt(5)
	global_store_dword v[12:13], v2, off offset:1632
	global_store_dword v[16:17], v3, off offset:16
	v_add_co_u32 v2, vcc_lo, 0x2800, v4
	v_add_co_ci_u32_e32 v3, vcc_lo, 0, v5, vcc_lo
	v_add_co_u32 v4, vcc_lo, 0x3000, v4
	v_add_co_ci_u32_e32 v5, vcc_lo, 0, v5, vcc_lo
	v_cmp_eq_u32_e32 vcc_lo, 0x6b, v24
	s_waitcnt lgkmcnt(4)
	global_store_dword v[16:17], v8, off offset:448
	global_store_dword v[16:17], v9, off offset:880
	s_waitcnt lgkmcnt(3)
	global_store_dword v[16:17], v6, off offset:1312
	global_store_dword v[16:17], v7, off offset:1744
	;; [unrolled: 3-line block ×3, first 2 shown]
	global_store_dword v[2:3], v18, off offset:992
	global_store_dword v[2:3], v19, off offset:1424
	;; [unrolled: 1-line block ×4, first 2 shown]
	s_and_b32 exec_lo, exec_lo, vcc_lo
	s_cbranch_execz .LBB0_20
; %bb.19:
	v_mov_b32_e32 v2, 0
	v_add_co_u32 v0, vcc_lo, 0x3000, v0
	v_add_co_ci_u32_e32 v1, vcc_lo, 0, v1, vcc_lo
	ds_read_b32 v2, v2 offset:12960
	s_waitcnt lgkmcnt(0)
	global_store_dword v[0:1], v2, off offset:672
.LBB0_20:
	s_endpgm
	.section	.rodata,"a",@progbits
	.p2align	6, 0x0
	.amdhsa_kernel fft_rtc_back_len3240_factors_3_3_10_6_6_wgs_108_tpt_108_halfLds_half_ip_CI_unitstride_sbrr_R2C_dirReg
		.amdhsa_group_segment_fixed_size 0
		.amdhsa_private_segment_fixed_size 0
		.amdhsa_kernarg_size 88
		.amdhsa_user_sgpr_count 6
		.amdhsa_user_sgpr_private_segment_buffer 1
		.amdhsa_user_sgpr_dispatch_ptr 0
		.amdhsa_user_sgpr_queue_ptr 0
		.amdhsa_user_sgpr_kernarg_segment_ptr 1
		.amdhsa_user_sgpr_dispatch_id 0
		.amdhsa_user_sgpr_flat_scratch_init 0
		.amdhsa_user_sgpr_private_segment_size 0
		.amdhsa_wavefront_size32 1
		.amdhsa_uses_dynamic_stack 0
		.amdhsa_system_sgpr_private_segment_wavefront_offset 0
		.amdhsa_system_sgpr_workgroup_id_x 1
		.amdhsa_system_sgpr_workgroup_id_y 0
		.amdhsa_system_sgpr_workgroup_id_z 0
		.amdhsa_system_sgpr_workgroup_info 0
		.amdhsa_system_vgpr_workitem_id 0
		.amdhsa_next_free_vgpr 137
		.amdhsa_next_free_sgpr 21
		.amdhsa_reserve_vcc 1
		.amdhsa_reserve_flat_scratch 0
		.amdhsa_float_round_mode_32 0
		.amdhsa_float_round_mode_16_64 0
		.amdhsa_float_denorm_mode_32 3
		.amdhsa_float_denorm_mode_16_64 3
		.amdhsa_dx10_clamp 1
		.amdhsa_ieee_mode 1
		.amdhsa_fp16_overflow 0
		.amdhsa_workgroup_processor_mode 1
		.amdhsa_memory_ordered 1
		.amdhsa_forward_progress 0
		.amdhsa_shared_vgpr_count 0
		.amdhsa_exception_fp_ieee_invalid_op 0
		.amdhsa_exception_fp_denorm_src 0
		.amdhsa_exception_fp_ieee_div_zero 0
		.amdhsa_exception_fp_ieee_overflow 0
		.amdhsa_exception_fp_ieee_underflow 0
		.amdhsa_exception_fp_ieee_inexact 0
		.amdhsa_exception_int_div_zero 0
	.end_amdhsa_kernel
	.text
.Lfunc_end0:
	.size	fft_rtc_back_len3240_factors_3_3_10_6_6_wgs_108_tpt_108_halfLds_half_ip_CI_unitstride_sbrr_R2C_dirReg, .Lfunc_end0-fft_rtc_back_len3240_factors_3_3_10_6_6_wgs_108_tpt_108_halfLds_half_ip_CI_unitstride_sbrr_R2C_dirReg
                                        ; -- End function
	.section	.AMDGPU.csdata,"",@progbits
; Kernel info:
; codeLenInByte = 21196
; NumSgprs: 23
; NumVgprs: 137
; ScratchSize: 0
; MemoryBound: 0
; FloatMode: 240
; IeeeMode: 1
; LDSByteSize: 0 bytes/workgroup (compile time only)
; SGPRBlocks: 2
; VGPRBlocks: 17
; NumSGPRsForWavesPerEU: 23
; NumVGPRsForWavesPerEU: 137
; Occupancy: 7
; WaveLimiterHint : 1
; COMPUTE_PGM_RSRC2:SCRATCH_EN: 0
; COMPUTE_PGM_RSRC2:USER_SGPR: 6
; COMPUTE_PGM_RSRC2:TRAP_HANDLER: 0
; COMPUTE_PGM_RSRC2:TGID_X_EN: 1
; COMPUTE_PGM_RSRC2:TGID_Y_EN: 0
; COMPUTE_PGM_RSRC2:TGID_Z_EN: 0
; COMPUTE_PGM_RSRC2:TIDIG_COMP_CNT: 0
	.text
	.p2alignl 6, 3214868480
	.fill 48, 4, 3214868480
	.type	__hip_cuid_6805aed0c006daa9,@object ; @__hip_cuid_6805aed0c006daa9
	.section	.bss,"aw",@nobits
	.globl	__hip_cuid_6805aed0c006daa9
__hip_cuid_6805aed0c006daa9:
	.byte	0                               ; 0x0
	.size	__hip_cuid_6805aed0c006daa9, 1

	.ident	"AMD clang version 19.0.0git (https://github.com/RadeonOpenCompute/llvm-project roc-6.4.0 25133 c7fe45cf4b819c5991fe208aaa96edf142730f1d)"
	.section	".note.GNU-stack","",@progbits
	.addrsig
	.addrsig_sym __hip_cuid_6805aed0c006daa9
	.amdgpu_metadata
---
amdhsa.kernels:
  - .args:
      - .actual_access:  read_only
        .address_space:  global
        .offset:         0
        .size:           8
        .value_kind:     global_buffer
      - .offset:         8
        .size:           8
        .value_kind:     by_value
      - .actual_access:  read_only
        .address_space:  global
        .offset:         16
        .size:           8
        .value_kind:     global_buffer
      - .actual_access:  read_only
        .address_space:  global
        .offset:         24
        .size:           8
        .value_kind:     global_buffer
      - .offset:         32
        .size:           8
        .value_kind:     by_value
      - .actual_access:  read_only
        .address_space:  global
        .offset:         40
        .size:           8
        .value_kind:     global_buffer
      - .actual_access:  read_only
        .address_space:  global
        .offset:         48
        .size:           8
        .value_kind:     global_buffer
      - .offset:         56
        .size:           4
        .value_kind:     by_value
      - .actual_access:  read_only
        .address_space:  global
        .offset:         64
        .size:           8
        .value_kind:     global_buffer
      - .actual_access:  read_only
        .address_space:  global
        .offset:         72
        .size:           8
        .value_kind:     global_buffer
      - .address_space:  global
        .offset:         80
        .size:           8
        .value_kind:     global_buffer
    .group_segment_fixed_size: 0
    .kernarg_segment_align: 8
    .kernarg_segment_size: 88
    .language:       OpenCL C
    .language_version:
      - 2
      - 0
    .max_flat_workgroup_size: 108
    .name:           fft_rtc_back_len3240_factors_3_3_10_6_6_wgs_108_tpt_108_halfLds_half_ip_CI_unitstride_sbrr_R2C_dirReg
    .private_segment_fixed_size: 0
    .sgpr_count:     23
    .sgpr_spill_count: 0
    .symbol:         fft_rtc_back_len3240_factors_3_3_10_6_6_wgs_108_tpt_108_halfLds_half_ip_CI_unitstride_sbrr_R2C_dirReg.kd
    .uniform_work_group_size: 1
    .uses_dynamic_stack: false
    .vgpr_count:     137
    .vgpr_spill_count: 0
    .wavefront_size: 32
    .workgroup_processor_mode: 1
amdhsa.target:   amdgcn-amd-amdhsa--gfx1030
amdhsa.version:
  - 1
  - 2
...

	.end_amdgpu_metadata
